;; amdgpu-corpus repo=ROCm/rocFFT kind=compiled arch=gfx1201 opt=O3
	.text
	.amdgcn_target "amdgcn-amd-amdhsa--gfx1201"
	.amdhsa_code_object_version 6
	.protected	bluestein_single_fwd_len780_dim1_sp_op_CI_CI ; -- Begin function bluestein_single_fwd_len780_dim1_sp_op_CI_CI
	.globl	bluestein_single_fwd_len780_dim1_sp_op_CI_CI
	.p2align	8
	.type	bluestein_single_fwd_len780_dim1_sp_op_CI_CI,@function
bluestein_single_fwd_len780_dim1_sp_op_CI_CI: ; @bluestein_single_fwd_len780_dim1_sp_op_CI_CI
; %bb.0:
	s_load_b128 s[12:15], s[0:1], 0x28
	v_mul_u32_u24_e32 v1, 0x349, v0
	s_mov_b32 s2, exec_lo
	s_delay_alu instid0(VALU_DEP_1) | instskip(NEXT) | instid1(VALU_DEP_1)
	v_lshrrev_b32_e32 v1, 16, v1
	v_mad_co_u64_u32 v[56:57], null, ttmp9, 3, v[1:2]
	v_mov_b32_e32 v57, 0
                                        ; kill: def $vgpr2 killed $sgpr0 killed $exec
	s_wait_kmcnt 0x0
	s_delay_alu instid0(VALU_DEP_1)
	v_cmpx_gt_u64_e64 s[12:13], v[56:57]
	s_cbranch_execz .LBB0_18
; %bb.1:
	s_clause 0x1
	s_load_b128 s[4:7], s[0:1], 0x18
	s_load_b128 s[8:11], s[0:1], 0x0
	v_mul_lo_u16 v1, 0x4e, v1
	s_movk_i32 s2, 0xf640
	s_mov_b32 s3, -1
	s_delay_alu instid0(VALU_DEP_1) | instskip(NEXT) | instid1(VALU_DEP_1)
	v_sub_nc_u16 v31, v0, v1
	v_and_b32_e32 v93, 0xffff, v31
	v_lshlrev_b16 v25, 1, v31
	s_delay_alu instid0(VALU_DEP_2)
	v_lshlrev_b32_e32 v107, 3, v93
	s_wait_kmcnt 0x0
	s_load_b128 s[16:19], s[4:5], 0x0
	s_clause 0x7
	global_load_b64 v[71:72], v107, s[8:9] offset:3120
	global_load_b64 v[57:58], v107, s[8:9] offset:3744
	;; [unrolled: 1-line block ×3, first 2 shown]
	global_load_b64 v[75:76], v107, s[8:9]
	global_load_b64 v[67:68], v107, s[8:9] offset:624
	global_load_b64 v[63:64], v107, s[8:9] offset:1248
	;; [unrolled: 1-line block ×4, first 2 shown]
	s_wait_kmcnt 0x0
	v_mad_co_u64_u32 v[0:1], null, s18, v56, 0
	v_mad_co_u64_u32 v[2:3], null, s16, v93, 0
	s_mul_u64 s[4:5], s[16:17], 0xc30
	s_mul_u64 s[2:3], s[16:17], s[2:3]
	s_delay_alu instid0(VALU_DEP_1) | instskip(NEXT) | instid1(VALU_DEP_1)
	v_mad_co_u64_u32 v[4:5], null, s19, v56, v[1:2]
	v_mad_co_u64_u32 v[5:6], null, s17, v93, v[3:4]
	v_mov_b32_e32 v1, v4
	s_delay_alu instid0(VALU_DEP_1) | instskip(NEXT) | instid1(VALU_DEP_3)
	v_lshlrev_b64_e32 v[0:1], 3, v[0:1]
	v_mov_b32_e32 v3, v5
	s_delay_alu instid0(VALU_DEP_2) | instskip(NEXT) | instid1(VALU_DEP_2)
	v_add_co_u32 v0, vcc_lo, s14, v0
	v_lshlrev_b64_e32 v[2:3], 3, v[2:3]
	s_delay_alu instid0(VALU_DEP_4) | instskip(NEXT) | instid1(VALU_DEP_2)
	v_add_co_ci_u32_e32 v1, vcc_lo, s15, v1, vcc_lo
	v_add_co_u32 v0, vcc_lo, v0, v2
	s_wait_alu 0xfffd
	s_delay_alu instid0(VALU_DEP_2) | instskip(NEXT) | instid1(VALU_DEP_2)
	v_add_co_ci_u32_e32 v1, vcc_lo, v1, v3, vcc_lo
	v_add_co_u32 v2, vcc_lo, v0, s4
	s_wait_alu 0xfffd
	s_delay_alu instid0(VALU_DEP_2) | instskip(NEXT) | instid1(VALU_DEP_2)
	v_add_co_ci_u32_e32 v3, vcc_lo, s5, v1, vcc_lo
	v_add_co_u32 v4, vcc_lo, v2, s2
	s_wait_alu 0xfffd
	s_delay_alu instid0(VALU_DEP_2)
	v_add_co_ci_u32_e32 v5, vcc_lo, s3, v3, vcc_lo
	s_clause 0x1
	global_load_b64 v[0:1], v[0:1], off
	global_load_b64 v[2:3], v[2:3], off
	v_add_co_u32 v6, vcc_lo, v4, s4
	s_wait_alu 0xfffd
	v_add_co_ci_u32_e32 v7, vcc_lo, s5, v5, vcc_lo
	s_delay_alu instid0(VALU_DEP_2) | instskip(SKIP_1) | instid1(VALU_DEP_2)
	v_add_co_u32 v8, vcc_lo, v6, s2
	s_wait_alu 0xfffd
	v_add_co_ci_u32_e32 v9, vcc_lo, s3, v7, vcc_lo
	s_clause 0x1
	global_load_b64 v[4:5], v[4:5], off
	global_load_b64 v[6:7], v[6:7], off
	v_add_co_u32 v10, vcc_lo, v8, s4
	s_wait_alu 0xfffd
	v_add_co_ci_u32_e32 v11, vcc_lo, s5, v9, vcc_lo
	global_load_b64 v[8:9], v[8:9], off
	v_add_co_u32 v12, vcc_lo, v10, s2
	s_wait_alu 0xfffd
	v_add_co_ci_u32_e32 v13, vcc_lo, s3, v11, vcc_lo
	;; [unrolled: 4-line block ×5, first 2 shown]
	s_load_b64 s[2:3], s[0:1], 0x38
	v_cmp_gt_u16_e32 vcc_lo, 26, v31
	s_wait_loadcnt 0x7
	v_mul_f32_e32 v24, v0, v76
	global_load_b64 v[69:70], v107, s[8:9] offset:2496
	global_load_b64 v[16:17], v[16:17], off
	global_load_b64 v[73:74], v107, s[8:9] offset:5616
	global_load_b64 v[19:20], v[18:19], off
	v_mul_hi_u32 v18, 0xaaaaaaab, v56
	s_wait_loadcnt 0xa
	v_mul_f32_e32 v21, v3, v72
	v_mul_f32_e32 v22, v2, v72
	v_fma_f32 v24, v1, v75, -v24
	s_load_b128 s[4:7], s[6:7], 0x0
	v_mul_f32_e32 v23, v1, v76
	v_fmac_f32_e32 v21, v2, v71
	v_fma_f32 v22, v3, v71, -v22
	s_wait_loadcnt 0x9
	v_mul_f32_e32 v2, v5, v68
	v_lshrrev_b32_e32 v18, 1, v18
	v_mul_f32_e32 v1, v4, v68
	s_wait_loadcnt 0x8
	v_dual_fmac_f32 v23, v0, v75 :: v_dual_mul_f32 v0, v7, v58
	v_fmac_f32_e32 v2, v4, v67
	v_lshl_add_u32 v18, v18, 1, v18
	s_wait_loadcnt 0x7
	v_mul_f32_e32 v4, v9, v64
	v_fmac_f32_e32 v0, v6, v57
	s_delay_alu instid0(VALU_DEP_3) | instskip(NEXT) | instid1(VALU_DEP_3)
	v_sub_nc_u32_e32 v18, v56, v18
	v_fmac_f32_e32 v4, v8, v63
	s_delay_alu instid0(VALU_DEP_2) | instskip(SKIP_1) | instid1(VALU_DEP_2)
	v_mul_u32_u24_e32 v108, 0x30c, v18
	v_add_co_u32 v18, null, 0x4e, v93
	v_lshlrev_b32_e32 v95, 3, v108
	s_delay_alu instid0(VALU_DEP_1) | instskip(NEXT) | instid1(VALU_DEP_3)
	v_add_nc_u32_e32 v94, v107, v95
	v_lshl_add_u32 v100, v18, 4, v95
	v_lshl_add_u32 v77, v93, 4, v95
	s_delay_alu instid0(VALU_DEP_3)
	v_add_nc_u32_e32 v44, 0x1000, v94
	v_add_nc_u32_e32 v45, 0x800, v94
	ds_store_b64 v94, v[21:22] offset:3120
	v_mul_f32_e32 v21, v6, v58
	s_wait_loadcnt 0x6
	v_mul_f32_e32 v6, v11, v62
	v_fma_f32 v3, v5, v67, -v1
	s_wait_loadcnt 0x5
	v_dual_mul_f32 v5, v8, v64 :: v_dual_mul_f32 v8, v13, v66
	v_fma_f32 v1, v7, v57, -v21
	v_mul_f32_e32 v7, v10, v62
	v_fmac_f32_e32 v6, v10, v61
	s_wait_loadcnt 0x4
	v_mul_f32_e32 v10, v15, v60
	v_fma_f32 v5, v9, v63, -v5
	v_mul_f32_e32 v9, v12, v66
	v_fmac_f32_e32 v8, v12, v65
	v_fma_f32 v7, v11, v61, -v7
	v_mul_f32_e32 v11, v14, v60
	v_fmac_f32_e32 v10, v14, v59
	v_fma_f32 v9, v13, v65, -v9
	v_add_nc_u32_e32 v26, 0xc00, v94
	v_add_nc_u32_e32 v36, 0x400, v94
	v_fma_f32 v11, v15, v59, -v11
	s_wait_loadcnt 0x2
	v_mul_f32_e32 v13, v16, v70
	v_mul_f32_e32 v12, v17, v70
	s_wait_loadcnt 0x0
	v_mul_f32_e32 v14, v20, v74
	v_mul_f32_e32 v21, v19, v74
	v_fma_f32 v13, v17, v69, -v13
	v_fmac_f32_e32 v12, v16, v69
	s_delay_alu instid0(VALU_DEP_4) | instskip(NEXT) | instid1(VALU_DEP_4)
	v_fmac_f32_e32 v14, v19, v73
	v_fma_f32 v15, v20, v73, -v21
	ds_store_2addr_b64 v94, v[23:24], v[2:3] offset1:78
	ds_store_2addr_b64 v26, v[0:1], v[6:7] offset0:84 offset1:162
	ds_store_2addr_b64 v94, v[4:5], v[8:9] offset0:156 offset1:234
	ds_store_b64 v94, v[12:13] offset:2496
	ds_store_2addr_b64 v44, v[10:11], v[14:15] offset0:112 offset1:190
	global_wb scope:SCOPE_SE
	s_wait_dscnt 0x0
	s_wait_kmcnt 0x0
	s_barrier_signal -1
	s_barrier_wait -1
	global_inv scope:SCOPE_SE
	ds_load_2addr_b64 v[0:3], v94 offset1:78
	ds_load_2addr_b64 v[4:7], v45 offset0:56 offset1:134
	ds_load_2addr_b64 v[8:11], v26 offset0:84 offset1:162
	;; [unrolled: 1-line block ×4, first 2 shown]
	v_and_b32_e32 v16, 0xffff, v25
	v_add_co_u32 v20, null, 0x9c, v93
	v_add_co_u32 v19, null, 0xea, v93
	global_wb scope:SCOPE_SE
	s_wait_dscnt 0x0
	v_lshl_add_u32 v101, v20, 4, v95
	s_barrier_signal -1
	v_lshl_add_u32 v102, v19, 4, v95
	s_barrier_wait -1
	global_inv scope:SCOPE_SE
	v_dual_sub_f32 v25, v0, v6 :: v_dual_sub_f32 v26, v1, v7
	v_dual_sub_f32 v8, v2, v8 :: v_dual_sub_f32 v17, v15, v22
	v_sub_f32_e32 v9, v3, v9
	v_dual_sub_f32 v29, v12, v10 :: v_dual_sub_f32 v30, v13, v11
	v_lshl_add_u32 v99, v16, 3, v95
	v_sub_f32_e32 v16, v14, v21
	v_dual_sub_f32 v34, v4, v23 :: v_dual_sub_f32 v35, v5, v24
	v_fma_f32 v23, v0, 2.0, -v25
	v_fma_f32 v24, v1, 2.0, -v26
	;; [unrolled: 1-line block ×10, first 2 shown]
	ds_store_b128 v99, v[23:26]
	ds_store_b128 v100, v[6:9]
	;; [unrolled: 1-line block ×4, first 2 shown]
	ds_store_b128 v77, v[32:35] offset:4992
	global_wb scope:SCOPE_SE
	s_wait_dscnt 0x0
	s_barrier_signal -1
	s_barrier_wait -1
	global_inv scope:SCOPE_SE
	ds_load_2addr_b64 v[40:43], v94 offset1:78
	ds_load_2addr_b64 v[36:39], v36 offset0:28 offset1:132
	ds_load_2addr_b64 v[0:3], v44 offset0:8 offset1:86
	;; [unrolled: 1-line block ×3, first 2 shown]
	ds_load_b64 v[12:13], v94 offset:5408
                                        ; implicit-def: $vgpr14
                                        ; implicit-def: $vgpr16
	s_and_saveexec_b32 s0, vcc_lo
	s_cbranch_execz .LBB0_3
; %bb.2:
	ds_load_b64 v[34:35], v94 offset:1872
	ds_load_b64 v[14:15], v94 offset:3952
	;; [unrolled: 1-line block ×3, first 2 shown]
.LBB0_3:
	s_wait_alu 0xfffe
	s_or_b32 exec_lo, exec_lo, s0
	v_and_b32_e32 v98, 1, v93
	v_lshrrev_b32_e32 v18, 1, v18
	v_lshrrev_b32_e32 v20, 1, v20
	;; [unrolled: 1-line block ×4, first 2 shown]
	v_lshlrev_b32_e32 v8, 4, v98
	v_mul_u32_u24_e32 v18, 6, v18
	v_mul_u32_u24_e32 v20, 6, v20
	;; [unrolled: 1-line block ×3, first 2 shown]
	global_load_b128 v[8:11], v8, s[10:11]
	global_wb scope:SCOPE_SE
	s_wait_loadcnt_dscnt 0x0
	s_barrier_signal -1
	s_barrier_wait -1
	global_inv scope:SCOPE_SE
	v_mul_f32_e32 v21, v0, v11
	v_or_b32_e32 v18, v18, v98
	v_or_b32_e32 v20, v20, v98
	;; [unrolled: 1-line block ×3, first 2 shown]
	v_dual_mul_f32 v22, v5, v9 :: v_dual_mul_f32 v33, v16, v11
	s_delay_alu instid0(VALU_DEP_4) | instskip(NEXT) | instid1(VALU_DEP_4)
	v_lshl_add_u32 v105, v18, 3, v95
	v_lshl_add_u32 v104, v20, 3, v95
	v_dual_mul_f32 v18, v39, v9 :: v_dual_mul_f32 v25, v2, v11
	v_dual_mul_f32 v20, v1, v11 :: v_dual_mul_f32 v23, v4, v9
	v_lshl_add_u32 v106, v19, 3, v95
	v_dual_mul_f32 v19, v38, v9 :: v_dual_mul_f32 v24, v3, v11
	v_mul_f32_e32 v27, v6, v9
	v_dual_mul_f32 v26, v7, v9 :: v_dual_fmac_f32 v21, v1, v10
	v_dual_mul_f32 v28, v13, v11 :: v_dual_mul_f32 v29, v15, v9
	v_dual_mul_f32 v30, v12, v11 :: v_dual_mul_f32 v31, v14, v9
	v_dual_mul_f32 v32, v17, v11 :: v_dual_fmac_f32 v19, v39, v8
	v_fma_f32 v18, v38, v8, -v18
	v_fma_f32 v0, v0, v10, -v20
	;; [unrolled: 1-line block ×4, first 2 shown]
	v_fmac_f32_e32 v25, v3, v10
	v_fma_f32 v3, v6, v8, -v26
	v_dual_fmac_f32 v27, v7, v8 :: v_dual_fmac_f32 v30, v13, v10
	v_fmac_f32_e32 v23, v5, v8
	v_fma_f32 v4, v12, v10, -v28
	v_fma_f32 v5, v14, v8, -v29
	v_dual_fmac_f32 v31, v15, v8 :: v_dual_add_f32 v14, v41, v19
	v_fma_f32 v6, v16, v10, -v32
	v_dual_fmac_f32 v33, v17, v10 :: v_dual_sub_f32 v16, v18, v0
	v_dual_add_f32 v12, v18, v0 :: v_dual_sub_f32 v13, v19, v21
	v_dual_add_f32 v15, v19, v21 :: v_dual_add_f32 v32, v37, v27
	v_dual_add_f32 v17, v42, v1 :: v_dual_add_f32 v24, v3, v4
	v_sub_f32_e32 v26, v27, v30
	v_dual_add_f32 v7, v40, v18 :: v_dual_add_f32 v20, v43, v23
	v_add_f32_e32 v18, v1, v2
	v_dual_add_f32 v22, v23, v25 :: v_dual_sub_f32 v1, v1, v2
	v_dual_add_f32 v39, v5, v6 :: v_dual_sub_f32 v52, v31, v33
	v_add_f32_e32 v27, v27, v30
	v_add_f32_e32 v50, v35, v31
	v_fma_f32 v44, -0.5, v12, v40
	v_add_f32_e32 v31, v31, v33
	v_dual_sub_f32 v19, v23, v25 :: v_dual_add_f32 v46, v17, v2
	v_dual_add_f32 v23, v36, v3 :: v_dual_add_f32 v38, v34, v5
	v_sub_f32_e32 v3, v3, v4
	v_sub_f32_e32 v5, v5, v6
	v_fma_f32 v45, -0.5, v15, v41
	v_fma_f32 v42, -0.5, v18, v42
	v_add_f32_e32 v38, v38, v6
	v_fmac_f32_e32 v43, -0.5, v22
	v_fma_f32 v36, -0.5, v24, v36
	s_delay_alu instid0(VALU_DEP_4)
	v_dual_add_f32 v49, v32, v30 :: v_dual_fmamk_f32 v40, v19, 0x3f5db3d7, v42
	v_fmac_f32_e32 v34, -0.5, v39
	v_dual_fmac_f32 v37, -0.5, v27 :: v_dual_fmamk_f32 v30, v13, 0x3f5db3d7, v44
	v_dual_fmac_f32 v35, -0.5, v31 :: v_dual_add_f32 v28, v7, v0
	v_add_f32_e32 v29, v14, v21
	v_dual_add_f32 v47, v20, v25 :: v_dual_add_f32 v48, v23, v4
	v_dual_add_f32 v39, v50, v33 :: v_dual_fmac_f32 v42, 0xbf5db3d7, v19
	v_dual_fmac_f32 v44, 0xbf5db3d7, v13 :: v_dual_fmamk_f32 v31, v16, 0xbf5db3d7, v45
	v_dual_fmac_f32 v45, 0x3f5db3d7, v16 :: v_dual_fmamk_f32 v32, v52, 0x3f5db3d7, v34
	v_fmamk_f32 v41, v1, 0xbf5db3d7, v43
	v_dual_fmac_f32 v43, 0x3f5db3d7, v1 :: v_dual_fmamk_f32 v50, v26, 0x3f5db3d7, v36
	v_dual_fmac_f32 v36, 0xbf5db3d7, v26 :: v_dual_fmamk_f32 v51, v3, 0xbf5db3d7, v37
	v_fmac_f32_e32 v37, 0x3f5db3d7, v3
	v_dual_fmac_f32 v34, 0xbf5db3d7, v52 :: v_dual_fmamk_f32 v33, v5, 0xbf5db3d7, v35
	v_fmac_f32_e32 v35, 0x3f5db3d7, v5
	ds_store_2addr_b64 v106, v[28:29], v[30:31] offset1:2
	ds_store_b64 v106, v[44:45] offset:32
	ds_store_2addr_b64 v105, v[46:47], v[40:41] offset1:2
	ds_store_b64 v105, v[42:43] offset:32
	;; [unrolled: 2-line block ×3, first 2 shown]
	s_and_saveexec_b32 s0, vcc_lo
	s_cbranch_execz .LBB0_5
; %bb.4:
	v_mul_u32_u24_e32 v0, 6, v103
	s_delay_alu instid0(VALU_DEP_1) | instskip(NEXT) | instid1(VALU_DEP_1)
	v_or_b32_e32 v0, v0, v98
	v_lshl_add_u32 v0, v0, 3, v95
	ds_store_2addr_b64 v0, v[38:39], v[32:33] offset1:2
	ds_store_b64 v0, v[34:35] offset:32
.LBB0_5:
	s_wait_alu 0xfffe
	s_or_b32 exec_lo, exec_lo, s0
	v_add_co_u32 v52, s0, s8, v107
	s_wait_alu 0xf1ff
	v_add_co_ci_u32_e64 v53, null, s9, 0, s0
	v_cmp_gt_u16_e64 s0, 60, v93
	global_wb scope:SCOPE_SE
	s_wait_dscnt 0x0
	s_barrier_signal -1
	s_barrier_wait -1
	global_inv scope:SCOPE_SE
                                        ; implicit-def: $vgpr54
	s_and_saveexec_b32 s1, s0
	s_cbranch_execz .LBB0_7
; %bb.6:
	v_add_nc_u32_e32 v0, 0x400, v94
	v_add_nc_u32_e32 v1, 0x800, v94
	;; [unrolled: 1-line block ×4, first 2 shown]
	ds_load_2addr_b64 v[28:31], v94 offset1:60
	ds_load_2addr_b64 v[44:47], v94 offset0:120 offset1:180
	ds_load_2addr_b64 v[40:43], v0 offset0:112 offset1:172
	;; [unrolled: 1-line block ×5, first 2 shown]
	ds_load_b64 v[54:55], v94 offset:5760
.LBB0_7:
	s_wait_alu 0xfffe
	s_or_b32 exec_lo, exec_lo, s1
	v_and_b32_e32 v0, 0xff, v93
	s_delay_alu instid0(VALU_DEP_1) | instskip(NEXT) | instid1(VALU_DEP_1)
	v_mul_lo_u16 v0, 0xab, v0
	v_lshrrev_b16 v97, 10, v0
	s_delay_alu instid0(VALU_DEP_1) | instskip(SKIP_1) | instid1(VALU_DEP_2)
	v_mul_lo_u16 v0, v97, 6
	v_and_b32_e32 v97, 0xffff, v97
	v_sub_nc_u16 v0, v93, v0
	s_delay_alu instid0(VALU_DEP_1) | instskip(NEXT) | instid1(VALU_DEP_1)
	v_and_b32_e32 v96, 0xff, v0
	v_mad_co_u64_u32 v[24:25], null, 0x60, v96, s[10:11]
	s_clause 0x5
	global_load_b128 v[16:19], v[24:25], off offset:32
	global_load_b128 v[12:15], v[24:25], off offset:48
	;; [unrolled: 1-line block ×6, first 2 shown]
	v_add_nc_u32_e32 v109, 0x1380, v77
	global_wb scope:SCOPE_SE
	s_wait_loadcnt_dscnt 0x0
	s_barrier_signal -1
	s_barrier_wait -1
	global_inv scope:SCOPE_SE
	v_mul_f32_e32 v88, v45, v19
	v_dual_mul_f32 v86, v46, v13 :: v_dual_mul_f32 v83, v48, v3
	v_dual_mul_f32 v82, v50, v5 :: v_dual_mul_f32 v79, v32, v23
	v_mul_f32_e32 v87, v31, v17
	v_dual_mul_f32 v113, v30, v17 :: v_dual_mul_f32 v110, v44, v19
	v_mul_f32_e32 v85, v40, v15
	v_dual_mul_f32 v91, v43, v1 :: v_dual_mul_f32 v92, v49, v3
	v_dual_mul_f32 v119, v39, v21 :: v_dual_mul_f32 v120, v33, v23
	s_delay_alu instid0(VALU_DEP_3)
	v_dual_mul_f32 v78, v34, v25 :: v_dual_fmac_f32 v85, v41, v14
	v_dual_mul_f32 v122, v55, v27 :: v_dual_fmac_f32 v83, v49, v2
	;; [unrolled: 1-line block ×3, first 2 shown]
	v_dual_fmac_f32 v82, v51, v4 :: v_dual_fmac_f32 v79, v33, v22
	v_dual_mul_f32 v89, v47, v13 :: v_dual_mul_f32 v90, v41, v15
	v_dual_mul_f32 v84, v42, v1 :: v_dual_mul_f32 v81, v36, v7
	v_dual_mul_f32 v80, v38, v21 :: v_dual_fmac_f32 v113, v31, v16
	v_dual_mul_f32 v121, v35, v25 :: v_dual_fmac_f32 v110, v45, v18
	v_fma_f32 v116, v30, v16, -v87
	v_fma_f32 v111, v42, v0, -v91
	;; [unrolled: 1-line block ×4, first 2 shown]
	v_dual_fmac_f32 v77, v55, v26 :: v_dual_add_f32 v38, v86, v79
	v_fmac_f32_e32 v78, v35, v24
	v_dual_mul_f32 v117, v51, v5 :: v_dual_mul_f32 v118, v37, v7
	v_fma_f32 v115, v44, v18, -v88
	v_fma_f32 v114, v46, v12, -v89
	;; [unrolled: 1-line block ×3, first 2 shown]
	v_dual_fmac_f32 v84, v43, v0 :: v_dual_fmac_f32 v81, v37, v6
	v_dual_fmac_f32 v80, v39, v20 :: v_dual_add_f32 v39, v116, v42
	v_fma_f32 v44, v32, v22, -v120
	v_fma_f32 v43, v34, v24, -v121
	v_add_f32_e32 v41, v113, v77
	v_sub_f32_e32 v159, v116, v42
	v_sub_f32_e32 v149, v110, v78
	v_fma_f32 v46, v36, v6, -v118
	v_add_f32_e32 v36, v85, v80
	v_dual_sub_f32 v158, v115, v43 :: v_dual_add_f32 v35, v114, v44
	v_sub_f32_e32 v154, v112, v45
	v_dual_sub_f32 v148, v86, v79 :: v_dual_sub_f32 v145, v85, v80
	v_dual_mul_f32 v118, 0xbf52af12, v149 :: v_dual_mul_f32 v139, 0xbf52af12, v159
	v_dual_sub_f32 v151, v113, v77 :: v_dual_add_f32 v40, v110, v78
	v_dual_add_f32 v37, v115, v43 :: v_dual_add_f32 v34, v112, v45
	v_mul_f32_e32 v123, 0xbeedf032, v159
	v_dual_mul_f32 v119, 0xbf6f5d39, v154 :: v_dual_mul_f32 v130, 0xbf6f5d39, v149
	v_fma_f32 v168, 0x3f116cb1, v41, -v139
	v_mul_f32_e32 v51, 0xbf6f5d39, v145
	v_dual_sub_f32 v157, v114, v44 :: v_dual_add_f32 v32, v84, v81
	v_dual_sub_f32 v143, v84, v81 :: v_dual_sub_f32 v140, v83, v82
	v_mul_f32_e32 v122, 0xbf52af12, v158
	v_fma_f32 v88, 0x3f62ad3f, v41, -v123
	v_fmamk_f32 v167, v37, 0xbeb58ec6, v130
	s_delay_alu instid0(VALU_DEP_4)
	v_mul_f32_e32 v135, 0xbf52af12, v143
	v_mul_f32_e32 v132, 0xbf52af12, v151
	v_add_f32_e32 v168, v29, v168
	v_fmamk_f32 v160, v34, 0xbeb58ec6, v51
	v_fma_f32 v48, v48, v2, -v92
	v_fma_f32 v47, v50, v4, -v117
	v_sub_f32_e32 v153, v111, v46
	v_dual_add_f32 v33, v83, v82 :: v_dual_mul_f32 v120, 0xbeedf032, v151
	v_dual_mul_f32 v55, 0xbf7e222b, v148 :: v_dual_mul_f32 v156, 0xbf7e222b, v159
	v_fma_f32 v90, 0x3f116cb1, v40, -v122
	v_fmamk_f32 v166, v39, 0x3f116cb1, v132
	v_dual_mul_f32 v121, 0xbf7e222b, v157 :: v_dual_add_f32 v88, v29, v88
	v_dual_sub_f32 v152, v48, v47 :: v_dual_mul_f32 v129, 0x3f7e222b, v153
	v_fma_f32 v180, 0x3df6dbef, v41, -v156
	v_mul_f32_e32 v137, 0xbf6f5d39, v158
	v_add_f32_e32 v166, v28, v166
	v_fma_f32 v92, 0x3df6dbef, v38, -v121
	v_add_f32_e32 v88, v90, v88
	v_dual_add_f32 v180, v29, v180 :: v_dual_fmamk_f32 v87, v39, 0x3f62ad3f, v120
	v_dual_add_f32 v31, v111, v46 :: v_dual_add_f32 v30, v48, v47
	v_fmamk_f32 v89, v37, 0x3f116cb1, v118
	v_fma_f32 v169, 0xbeb58ec6, v40, -v137
	v_dual_mul_f32 v147, 0xbf7e222b, v151 :: v_dual_add_f32 v88, v92, v88
	v_dual_mul_f32 v124, 0x3eedf032, v140 :: v_dual_add_f32 v87, v28, v87
	v_dual_mul_f32 v49, 0xbe750f2a, v140 :: v_dual_mul_f32 v144, 0xbe750f2a, v149
	v_fma_f32 v161, 0xbeb58ec6, v36, -v119
	v_fmamk_f32 v91, v35, 0x3df6dbef, v55
	v_fmamk_f32 v186, v31, 0x3f116cb1, v135
	v_dual_mul_f32 v146, 0x3eedf032, v154 :: v_dual_add_f32 v87, v89, v87
	v_add_f32_e32 v90, v169, v168
	v_fmamk_f32 v178, v39, 0x3df6dbef, v147
	v_dual_mul_f32 v50, 0xbf29c268, v143 :: v_dual_mul_f32 v117, 0xbf29c268, v153
	v_mul_f32_e32 v125, 0x3f7e222b, v143
	v_dual_mul_f32 v141, 0x3f6f5d39, v148 :: v_dual_mul_f32 v150, 0x3f6f5d39, v157
	v_dual_fmamk_f32 v164, v30, 0xbf788fa5, v49 :: v_dual_fmamk_f32 v179, v37, 0xbf788fa5, v144
	v_add_f32_e32 v178, v28, v178
	v_add_f32_e32 v88, v161, v88
	v_dual_mul_f32 v134, 0xbf29c268, v140 :: v_dual_add_f32 v87, v91, v87
	v_fmamk_f32 v182, v35, 0xbeb58ec6, v141
	v_dual_add_f32 v89, v167, v166 :: v_dual_mul_f32 v128, 0xbe750f2a, v148
	v_mul_f32_e32 v155, 0xbe750f2a, v158
	s_delay_alu instid0(VALU_DEP_4) | instskip(SKIP_3) | instid1(VALU_DEP_3)
	v_fmamk_f32 v188, v30, 0xbf3f9e67, v134
	v_add_f32_e32 v166, v179, v178
	v_dual_fmamk_f32 v162, v31, 0xbf3f9e67, v50 :: v_dual_add_f32 v87, v160, v87
	v_dual_mul_f32 v127, 0x3eedf032, v152 :: v_dual_mul_f32 v138, 0x3eedf032, v145
	v_dual_add_f32 v91, v182, v166 :: v_dual_fmamk_f32 v174, v31, 0x3df6dbef, v125
	s_delay_alu instid0(VALU_DEP_3) | instskip(SKIP_2) | instid1(VALU_DEP_3)
	v_dual_add_f32 v87, v162, v87 :: v_dual_mul_f32 v54, 0xbe750f2a, v152
	v_mul_f32_e32 v133, 0xbe750f2a, v157
	v_dual_mul_f32 v126, 0x3f29c268, v145 :: v_dual_mul_f32 v131, 0x3f29c268, v154
	v_dual_fmamk_f32 v176, v30, 0x3f62ad3f, v124 :: v_dual_add_f32 v87, v164, v87
	v_fma_f32 v181, 0xbf788fa5, v40, -v155
	v_fmamk_f32 v184, v34, 0x3f62ad3f, v138
	v_mul_f32_e32 v142, 0xbf52af12, v153
	v_fma_f32 v171, 0xbf788fa5, v38, -v133
	v_fmamk_f32 v172, v34, 0xbf3f9e67, v126
	v_fma_f32 v183, 0xbeb58ec6, v38, -v150
	v_dual_add_f32 v91, v184, v91 :: v_dual_fmamk_f32 v170, v35, 0xbf788fa5, v128
	v_add_f32_e32 v167, v181, v180
	v_mul_f32_e32 v136, 0xbf29c268, v152
	v_fma_f32 v173, 0xbf3f9e67, v36, -v131
	v_fma_f32 v185, 0x3f62ad3f, v36, -v146
	v_dual_add_f32 v89, v170, v89 :: v_dual_add_f32 v90, v171, v90
	v_add_f32_e32 v92, v183, v167
	v_fma_f32 v163, 0xbf3f9e67, v32, -v117
	v_fma_f32 v175, 0x3df6dbef, v32, -v129
	;; [unrolled: 1-line block ×3, first 2 shown]
	v_dual_add_f32 v89, v172, v89 :: v_dual_add_f32 v90, v173, v90
	v_add_f32_e32 v92, v185, v92
	v_fma_f32 v165, 0xbf788fa5, v33, -v54
	v_fma_f32 v177, 0x3f62ad3f, v33, -v127
	;; [unrolled: 1-line block ×3, first 2 shown]
	v_dual_add_f32 v88, v163, v88 :: v_dual_add_f32 v89, v174, v89
	v_dual_add_f32 v90, v175, v90 :: v_dual_add_f32 v91, v186, v91
	v_add_f32_e32 v92, v187, v92
	s_delay_alu instid0(VALU_DEP_3) | instskip(NEXT) | instid1(VALU_DEP_3)
	v_dual_add_f32 v88, v165, v88 :: v_dual_add_f32 v89, v176, v89
	v_dual_add_f32 v90, v177, v90 :: v_dual_add_f32 v91, v188, v91
	s_delay_alu instid0(VALU_DEP_3)
	v_add_f32_e32 v92, v189, v92
	s_and_saveexec_b32 s1, s0
	s_cbranch_execz .LBB0_9
; %bb.8:
	v_mul_f32_e32 v201, 0xbf29c268, v151
	v_mul_f32_e32 v162, 0xbf3f9e67, v41
	;; [unrolled: 1-line block ×5, first 2 shown]
	v_fmamk_f32 v163, v39, 0xbf3f9e67, v201
	v_fmamk_f32 v160, v159, 0x3f29c268, v162
	v_fmamk_f32 v206, v37, 0x3df6dbef, v204
	v_dual_mul_f32 v211, 0x3eedf032, v143 :: v_dual_mul_f32 v212, 0x3eedf032, v158
	s_delay_alu instid0(VALU_DEP_4) | instskip(NEXT) | instid1(VALU_DEP_4)
	v_dual_add_f32 v163, v28, v163 :: v_dual_mul_f32 v194, 0x3df6dbef, v40
	v_dual_mul_f32 v197, 0x3f62ad3f, v30 :: v_dual_add_f32 v160, v29, v160
	v_dual_mul_f32 v218, 0x3f52af12, v154 :: v_dual_mul_f32 v223, 0x3f52af12, v145
	s_delay_alu instid0(VALU_DEP_3) | instskip(NEXT) | instid1(VALU_DEP_4)
	v_add_f32_e32 v163, v206, v163
	v_fmamk_f32 v161, v158, 0xbf7e222b, v194
	v_fmamk_f32 v206, v35, 0x3f116cb1, v207
	v_mul_f32_e32 v198, 0x3f116cb1, v38
	v_dual_mul_f32 v199, 0x3f62ad3f, v33 :: v_dual_fmamk_f32 v214, v40, 0x3f62ad3f, v212
	s_delay_alu instid0(VALU_DEP_3) | instskip(NEXT) | instid1(VALU_DEP_3)
	v_dual_add_f32 v160, v161, v160 :: v_dual_add_f32 v163, v206, v163
	v_fmamk_f32 v161, v157, 0x3f52af12, v198
	v_fmamk_f32 v206, v34, 0xbf788fa5, v209
	v_mul_f32_e32 v202, 0xbf788fa5, v36
	v_mul_f32_e32 v205, 0x3f62ad3f, v32
	v_mul_f32_e32 v210, 0xbe750f2a, v159
	s_delay_alu instid0(VALU_DEP_4)
	v_dual_add_f32 v160, v161, v160 :: v_dual_add_f32 v163, v206, v163
	v_fmamk_f32 v206, v31, 0x3f62ad3f, v211
	v_fmamk_f32 v161, v154, 0xbe750f2a, v202
	v_mul_f32_e32 v208, 0xbeb58ec6, v33
	v_fma_f32 v224, 0x3f116cb1, v34, -v223
	v_mul_f32_e32 v215, 0xbf29c268, v157
	s_delay_alu instid0(VALU_DEP_4) | instskip(SKIP_2) | instid1(VALU_DEP_4)
	v_dual_add_f32 v163, v206, v163 :: v_dual_add_f32 v160, v161, v160
	v_fmamk_f32 v161, v153, 0xbeedf032, v205
	v_dual_mul_f32 v221, 0xbf29c268, v148 :: v_dual_fmac_f32 v162, 0xbf29c268, v159
	v_fmamk_f32 v217, v38, 0xbf3f9e67, v215
	v_fmac_f32_e32 v194, 0x3f7e222b, v158
	s_delay_alu instid0(VALU_DEP_4) | instskip(NEXT) | instid1(VALU_DEP_4)
	v_dual_add_f32 v160, v161, v160 :: v_dual_fmamk_f32 v161, v152, 0x3f6f5d39, v208
	v_add_f32_e32 v162, v29, v162
	v_fma_f32 v201, 0xbf3f9e67, v39, -v201
	v_mul_f32_e32 v216, 0xbe750f2a, v151
	s_delay_alu instid0(VALU_DEP_4) | instskip(NEXT) | instid1(VALU_DEP_3)
	v_dual_fmac_f32 v198, 0xbf52af12, v157 :: v_dual_add_f32 v161, v161, v160
	v_dual_fmamk_f32 v160, v41, 0xbf788fa5, v210 :: v_dual_add_f32 v201, v28, v201
	v_fma_f32 v204, 0x3df6dbef, v37, -v204
	v_mul_f32_e32 v222, 0x3f7e222b, v152
	v_fmac_f32_e32 v202, 0x3e750f2a, v154
	s_delay_alu instid0(VALU_DEP_4) | instskip(SKIP_2) | instid1(VALU_DEP_3)
	v_add_f32_e32 v160, v29, v160
	v_dual_mul_f32 v174, 0xbf788fa5, v37 :: v_dual_mul_f32 v175, 0xbf788fa5, v40
	v_dual_add_f32 v201, v204, v201 :: v_dual_fmac_f32 v208, 0xbf6f5d39, v152
	v_add_f32_e32 v214, v214, v160
	v_mul_f32_e32 v213, 0xbf6f5d39, v140
	v_mul_f32_e32 v154, 0xbf7e222b, v154
	v_dual_mul_f32 v166, 0x3f116cb1, v39 :: v_dual_mul_f32 v167, 0x3f116cb1, v41
	s_delay_alu instid0(VALU_DEP_4) | instskip(SKIP_3) | instid1(VALU_DEP_4)
	v_dual_add_f32 v214, v217, v214 :: v_dual_fmamk_f32 v217, v36, 0x3f116cb1, v218
	v_add_f32_e32 v162, v194, v162
	v_dual_mul_f32 v168, 0x3df6dbef, v39 :: v_dual_mul_f32 v169, 0x3df6dbef, v41
	v_dual_mul_f32 v180, 0xbeb58ec6, v35 :: v_dual_mul_f32 v181, 0xbeb58ec6, v38
	v_dual_add_f32 v214, v217, v214 :: v_dual_mul_f32 v219, 0xbf6f5d39, v153
	s_delay_alu instid0(VALU_DEP_4) | instskip(SKIP_2) | instid1(VALU_DEP_4)
	v_add_f32_e32 v162, v198, v162
	v_dual_mul_f32 v152, 0x3f52af12, v152 :: v_dual_add_f32 v139, v139, v167
	v_add_f32_e32 v156, v156, v169
	v_fmamk_f32 v217, v32, 0xbeb58ec6, v219
	v_dual_mul_f32 v148, 0x3eedf032, v148 :: v_dual_sub_f32 v147, v168, v147
	v_sub_f32_e32 v141, v180, v141
	v_add_f32_e32 v139, v29, v139
	s_delay_alu instid0(VALU_DEP_4)
	v_add_f32_e32 v214, v217, v214
	v_fmamk_f32 v217, v33, 0x3df6dbef, v222
	v_fmamk_f32 v206, v30, 0xbeb58ec6, v213
	v_add_f32_e32 v156, v29, v156
	v_dual_mul_f32 v172, 0xbeb58ec6, v37 :: v_dual_mul_f32 v173, 0xbeb58ec6, v40
	v_dual_mul_f32 v178, 0xbf788fa5, v35 :: v_dual_mul_f32 v179, 0xbf788fa5, v38
	s_delay_alu instid0(VALU_DEP_4)
	v_add_f32_e32 v160, v206, v163
	v_fma_f32 v163, 0xbf788fa5, v39, -v216
	v_mul_f32_e32 v206, 0x3eedf032, v149
	v_fma_f32 v204, 0x3f116cb1, v35, -v207
	v_mul_f32_e32 v207, 0xbf7e222b, v145
	v_add_f32_e32 v137, v137, v173
	v_add_f32_e32 v163, v28, v163
	v_fma_f32 v220, 0x3f62ad3f, v37, -v206
	v_dual_mul_f32 v186, 0x3f62ad3f, v34 :: v_dual_mul_f32 v187, 0x3f62ad3f, v36
	v_mul_f32_e32 v159, 0xbf6f5d39, v159
	v_dual_mul_f32 v184, 0xbf3f9e67, v34 :: v_dual_mul_f32 v185, 0xbf3f9e67, v36
	s_delay_alu instid0(VALU_DEP_4)
	v_add_f32_e32 v163, v220, v163
	v_fma_f32 v220, 0xbf3f9e67, v35, -v221
	v_mul_f32_e32 v151, 0xbf6f5d39, v151
	v_mul_f32_e32 v149, 0x3f29c268, v149
	v_add_f32_e32 v155, v155, v175
	v_dual_mul_f32 v192, 0x3f116cb1, v31 :: v_dual_mul_f32 v193, 0x3f116cb1, v32
	v_dual_add_f32 v220, v220, v163 :: v_dual_add_f32 v163, v217, v214
	v_mul_f32_e32 v214, 0xbf6f5d39, v143
	v_dual_add_f32 v146, v146, v187 :: v_dual_add_f32 v131, v131, v185
	s_delay_alu instid0(VALU_DEP_3) | instskip(SKIP_1) | instid1(VALU_DEP_4)
	v_add_f32_e32 v217, v224, v220
	v_mul_f32_e32 v220, 0x3f7e222b, v140
	v_fma_f32 v194, 0xbeb58ec6, v31, -v214
	v_mul_f32_e32 v140, 0x3f52af12, v140
	v_mul_f32_e32 v143, 0x3e750f2a, v143
	v_dual_mul_f32 v190, 0x3df6dbef, v31 :: v_dual_mul_f32 v191, 0x3df6dbef, v32
	s_delay_alu instid0(VALU_DEP_4) | instskip(SKIP_3) | instid1(VALU_DEP_3)
	v_add_f32_e32 v194, v194, v217
	v_fma_f32 v198, 0x3df6dbef, v30, -v220
	v_fmac_f32_e32 v205, 0x3eedf032, v153
	v_dual_mul_f32 v153, 0x3e750f2a, v153 :: v_dual_add_f32 v202, v202, v162
	v_dual_add_f32 v155, v155, v156 :: v_dual_add_f32 v162, v198, v194
	v_add_f32_e32 v194, v204, v201
	v_fma_f32 v198, 0xbf788fa5, v34, -v209
	s_delay_alu instid0(VALU_DEP_4) | instskip(SKIP_2) | instid1(VALU_DEP_4)
	v_add_f32_e32 v201, v205, v202
	v_fmamk_f32 v202, v41, 0xbeb58ec6, v159
	v_mul_f32_e32 v204, 0x3f29c268, v158
	v_dual_mul_f32 v205, 0x3eedf032, v157 :: v_dual_add_f32 v194, v198, v194
	v_fma_f32 v198, 0x3f62ad3f, v31, -v211
	s_delay_alu instid0(VALU_DEP_4) | instskip(NEXT) | instid1(VALU_DEP_4)
	v_dual_add_f32 v158, v208, v201 :: v_dual_add_f32 v201, v29, v202
	v_fmamk_f32 v202, v40, 0xbf3f9e67, v204
	v_add_f32_e32 v147, v28, v147
	s_delay_alu instid0(VALU_DEP_4)
	v_add_f32_e32 v157, v198, v194
	v_fma_f32 v194, 0xbeb58ec6, v30, -v213
	v_fma_f32 v175, 0xbf788fa5, v31, -v143
	v_add_f32_e32 v198, v202, v201
	v_fmamk_f32 v201, v38, 0x3f62ad3f, v205
	v_fma_f32 v202, 0xbf3f9e67, v37, -v149
	v_add_f32_e32 v157, v194, v157
	v_fma_f32 v194, 0xbeb58ec6, v39, -v151
	v_fma_f32 v168, 0x3f116cb1, v30, -v140
	v_dual_add_f32 v198, v201, v198 :: v_dual_fmamk_f32 v201, v36, 0x3df6dbef, v154
	s_delay_alu instid0(VALU_DEP_3) | instskip(SKIP_2) | instid1(VALU_DEP_4)
	v_dual_add_f32 v137, v137, v139 :: v_dual_add_f32 v194, v28, v194
	v_dual_add_f32 v133, v133, v179 :: v_dual_add_f32 v142, v142, v193
	v_add_f32_e32 v129, v129, v191
	v_add_f32_e32 v198, v201, v198
	s_delay_alu instid0(VALU_DEP_4) | instskip(SKIP_4) | instid1(VALU_DEP_4)
	v_add_f32_e32 v194, v202, v194
	v_fma_f32 v202, 0x3f62ad3f, v35, -v148
	v_fmamk_f32 v201, v32, 0xbf788fa5, v153
	v_dual_add_f32 v133, v133, v137 :: v_dual_sub_f32 v132, v166, v132
	v_dual_sub_f32 v130, v172, v130 :: v_dual_add_f32 v127, v127, v199
	v_add_f32_e32 v169, v202, v194
	v_fma_f32 v194, 0x3df6dbef, v34, -v207
	v_add_f32_e32 v145, v201, v198
	v_dual_fmamk_f32 v198, v33, 0x3f116cb1, v152 :: v_dual_sub_f32 v135, v192, v135
	v_dual_sub_f32 v128, v178, v128 :: v_dual_add_f32 v113, v29, v113
	s_delay_alu instid0(VALU_DEP_4) | instskip(SKIP_2) | instid1(VALU_DEP_3)
	v_add_f32_e32 v169, v194, v169
	v_dual_add_f32 v131, v131, v133 :: v_dual_add_f32 v132, v28, v132
	v_dual_mul_f32 v164, 0x3f62ad3f, v39 :: v_dual_mul_f32 v165, 0x3f62ad3f, v41
	v_dual_add_f32 v156, v175, v169 :: v_dual_sub_f32 v169, v174, v144
	v_dual_mul_f32 v200, 0xbf3f9e67, v30 :: v_dual_mul_f32 v203, 0xbf3f9e67, v33
	s_delay_alu instid0(VALU_DEP_4) | instskip(NEXT) | instid1(VALU_DEP_3)
	v_add_f32_e32 v130, v130, v132
	v_dual_add_f32 v144, v168, v156 :: v_dual_add_f32 v147, v169, v147
	v_add_f32_e32 v150, v150, v181
	v_add_f32_e32 v110, v113, v110
	v_dual_mul_f32 v170, 0x3f116cb1, v37 :: v_dual_mul_f32 v171, 0x3f116cb1, v40
	s_delay_alu instid0(VALU_DEP_4) | instskip(NEXT) | instid1(VALU_DEP_4)
	v_add_f32_e32 v141, v141, v147
	v_add_f32_e32 v150, v150, v155
	v_dual_mul_f32 v176, 0x3df6dbef, v35 :: v_dual_mul_f32 v177, 0x3df6dbef, v38
	v_sub_f32_e32 v134, v200, v134
	v_add_f32_e32 v128, v128, v130
	s_delay_alu instid0(VALU_DEP_4) | instskip(SKIP_2) | instid1(VALU_DEP_3)
	v_add_f32_e32 v146, v146, v150
	v_dual_sub_f32 v130, v184, v126 :: v_dual_add_f32 v123, v123, v165
	v_dual_add_f32 v86, v110, v86 :: v_dual_sub_f32 v55, v176, v55
	v_add_f32_e32 v139, v142, v146
	v_dual_mul_f32 v182, 0xbeb58ec6, v34 :: v_dual_mul_f32 v183, 0xbeb58ec6, v36
	v_dual_mul_f32 v188, 0xbf3f9e67, v31 :: v_dual_mul_f32 v189, 0xbf3f9e67, v32
	v_dual_sub_f32 v138, v186, v138 :: v_dual_add_f32 v129, v129, v131
	v_dual_add_f32 v132, v136, v203 :: v_dual_sub_f32 v131, v190, v125
	v_dual_sub_f32 v124, v197, v124 :: v_dual_add_f32 v85, v86, v85
	v_dual_add_f32 v116, v28, v116 :: v_dual_add_f32 v113, v29, v123
	v_add_f32_e32 v122, v122, v171
	s_delay_alu instid0(VALU_DEP_4) | instskip(SKIP_4) | instid1(VALU_DEP_3)
	v_add_f32_e32 v126, v132, v139
	v_add_f32_e32 v130, v130, v128
	v_dual_add_f32 v84, v85, v84 :: v_dual_add_f32 v85, v119, v183
	v_dual_add_f32 v128, v127, v129 :: v_dual_add_f32 v115, v116, v115
	v_add_f32_e32 v113, v122, v113
	v_dual_add_f32 v116, v121, v177 :: v_dual_add_f32 v83, v84, v83
	v_dual_mul_f32 v195, 0xbf788fa5, v30 :: v_dual_mul_f32 v196, 0xbf788fa5, v33
	v_sub_f32_e32 v110, v164, v120
	v_dual_add_f32 v114, v115, v114 :: v_dual_sub_f32 v51, v182, v51
	s_delay_alu instid0(VALU_DEP_3) | instskip(SKIP_1) | instid1(VALU_DEP_3)
	v_dual_add_f32 v113, v116, v113 :: v_dual_add_f32 v54, v54, v196
	v_add_f32_e32 v82, v83, v82
	v_dual_add_f32 v112, v114, v112 :: v_dual_sub_f32 v49, v195, v49
	s_delay_alu instid0(VALU_DEP_3) | instskip(SKIP_4) | instid1(VALU_DEP_3)
	v_add_f32_e32 v84, v85, v113
	v_dual_add_f32 v85, v117, v189 :: v_dual_add_f32 v86, v28, v110
	v_sub_f32_e32 v110, v170, v118
	v_dual_add_f32 v81, v82, v81 :: v_dual_sub_f32 v50, v188, v50
	v_fmac_f32_e32 v221, 0xbf3f9e67, v35
	v_dual_add_f32 v83, v85, v84 :: v_dual_add_f32 v86, v110, v86
	v_add_f32_e32 v110, v112, v111
	v_fmac_f32_e32 v151, 0xbeb58ec6, v39
	v_fmac_f32_e32 v223, 0x3f116cb1, v34
	;; [unrolled: 1-line block ×3, first 2 shown]
	v_fma_f32 v35, 0x3df6dbef, v36, -v154
	v_dual_add_f32 v48, v110, v48 :: v_dual_fmac_f32 v207, 0x3df6dbef, v34
	v_fmac_f32_e32 v149, 0xbf3f9e67, v37
	v_fmac_f32_e32 v214, 0xbeb58ec6, v31
	v_dual_add_f32 v138, v138, v141 :: v_dual_add_f32 v127, v131, v130
	s_delay_alu instid0(VALU_DEP_4) | instskip(SKIP_2) | instid1(VALU_DEP_4)
	v_add_f32_e32 v48, v48, v47
	v_fmac_f32_e32 v220, 0x3df6dbef, v30
	v_fmac_f32_e32 v140, 0x3f116cb1, v30
	v_add_f32_e32 v133, v135, v138
	v_add_f32_e32 v127, v124, v127
	v_add_f32_e32 v46, v48, v46
	v_dual_add_f32 v48, v81, v80 :: v_dual_add_f32 v145, v198, v145
	s_delay_alu instid0(VALU_DEP_4) | instskip(NEXT) | instid1(VALU_DEP_2)
	v_add_f32_e32 v125, v134, v133
	v_dual_add_f32 v45, v46, v45 :: v_dual_add_f32 v48, v48, v79
	s_delay_alu instid0(VALU_DEP_1) | instskip(SKIP_3) | instid1(VALU_DEP_4)
	v_dual_add_f32 v44, v45, v44 :: v_dual_add_f32 v45, v48, v78
	v_add_f32_e32 v47, v54, v83
	v_fma_f32 v54, 0xbf788fa5, v41, -v210
	v_fma_f32 v41, 0xbeb58ec6, v41, -v159
	v_dual_add_f32 v44, v44, v43 :: v_dual_add_f32 v43, v45, v77
	v_add_f32_e32 v55, v55, v86
	s_delay_alu instid0(VALU_DEP_1) | instskip(NEXT) | instid1(VALU_DEP_1)
	v_add_f32_e32 v51, v51, v55
	v_dual_add_f32 v50, v50, v51 :: v_dual_add_f32 v51, v29, v54
	v_fma_f32 v54, 0x3f62ad3f, v40, -v212
	v_add_f32_e32 v29, v29, v41
	v_fma_f32 v40, 0xbf3f9e67, v40, -v204
	s_delay_alu instid0(VALU_DEP_4)
	v_add_f32_e32 v46, v49, v50
	v_fmac_f32_e32 v216, 0xbf788fa5, v39
	v_add_f32_e32 v48, v54, v51
	v_fma_f32 v49, 0xbf3f9e67, v38, -v215
	v_add_f32_e32 v29, v40, v29
	v_fma_f32 v38, 0x3f62ad3f, v38, -v205
	v_add_f32_e32 v50, v28, v216
	s_delay_alu instid0(VALU_DEP_4) | instskip(SKIP_1) | instid1(VALU_DEP_4)
	v_add_f32_e32 v45, v49, v48
	v_fma_f32 v48, 0x3f116cb1, v36, -v218
	v_dual_add_f32 v29, v38, v29 :: v_dual_add_f32 v42, v44, v42
	v_fma_f32 v36, 0x3df6dbef, v33, -v222
	v_fma_f32 v33, 0x3f116cb1, v33, -v152
	s_delay_alu instid0(VALU_DEP_4) | instskip(NEXT) | instid1(VALU_DEP_4)
	v_add_f32_e32 v45, v48, v45
	v_add_f32_e32 v29, v35, v29
	v_fma_f32 v48, 0xbeb58ec6, v32, -v219
	v_mul_u32_u24_e32 v35, 0x4e, v97
	v_fma_f32 v32, 0xbf788fa5, v32, -v153
	v_fmac_f32_e32 v206, 0x3f62ad3f, v37
	v_fmac_f32_e32 v143, 0xbf788fa5, v31
	v_add_f32_e32 v37, v48, v45
	s_delay_alu instid0(VALU_DEP_4) | instskip(SKIP_1) | instid1(VALU_DEP_3)
	v_dual_add_f32 v32, v32, v29 :: v_dual_add_nc_u32 v31, v35, v96
	v_add_f32_e32 v28, v28, v151
	v_add_f32_e32 v29, v36, v37
	s_delay_alu instid0(VALU_DEP_3) | instskip(NEXT) | instid1(VALU_DEP_4)
	v_lshl_add_u32 v38, v31, 3, v95
	v_add_f32_e32 v31, v33, v32
	s_delay_alu instid0(VALU_DEP_4) | instskip(NEXT) | instid1(VALU_DEP_1)
	v_add_f32_e32 v28, v149, v28
	v_add_f32_e32 v28, v148, v28
	s_delay_alu instid0(VALU_DEP_1) | instskip(NEXT) | instid1(VALU_DEP_1)
	v_add_f32_e32 v28, v207, v28
	v_dual_add_f32 v44, v206, v50 :: v_dual_add_f32 v35, v143, v28
	s_delay_alu instid0(VALU_DEP_1) | instskip(NEXT) | instid1(VALU_DEP_1)
	v_dual_add_f32 v39, v221, v44 :: v_dual_add_f32 v30, v140, v35
	v_add_f32_e32 v39, v223, v39
	s_delay_alu instid0(VALU_DEP_1) | instskip(NEXT) | instid1(VALU_DEP_1)
	v_add_f32_e32 v34, v214, v39
	v_add_f32_e32 v28, v220, v34
	ds_store_2addr_b64 v38, v[42:43], v[46:47] offset1:6
	ds_store_2addr_b64 v38, v[127:128], v[125:126] offset0:12 offset1:18
	ds_store_2addr_b64 v38, v[144:145], v[157:158] offset0:24 offset1:30
	;; [unrolled: 1-line block ×5, first 2 shown]
	ds_store_b64 v38, v[87:88] offset:576
.LBB0_9:
	s_wait_alu 0xfffe
	s_or_b32 exec_lo, exec_lo, s1
	v_lshlrev_b32_e32 v45, 5, v93
	global_wb scope:SCOPE_SE
	s_wait_dscnt 0x0
	s_barrier_signal -1
	s_barrier_wait -1
	global_inv scope:SCOPE_SE
	s_clause 0x1
	global_load_b128 v[32:35], v45, s[10:11] offset:608
	global_load_b128 v[28:31], v45, s[10:11] offset:624
	ds_load_2addr_b64 v[37:40], v94 offset0:156 offset1:234
	v_add_nc_u32_e32 v48, 0x800, v94
	v_add_nc_u32_e32 v36, 0xc00, v94
	v_mul_i32_i24_e32 v47, 0xffffffe8, v93
	ds_load_2addr_b64 v[41:44], v48 offset0:56 offset1:134
	ds_load_2addr_b64 v[77:80], v94 offset1:78
	ds_load_2addr_b64 v[81:84], v36 offset0:84 offset1:162
	v_add_nc_u32_e32 v49, 0x1000, v94
	v_mul_hi_i32_i24_e32 v46, 0xffffffe8, v93
	v_lshl_add_u32 v107, v108, 3, v107
	s_add_nc_u64 s[8:9], s[8:9], 0x1860
	s_delay_alu instid0(VALU_DEP_1)
	v_add_nc_u32_e32 v108, 0x1000, v107
	s_wait_loadcnt_dscnt 0x102
	v_mul_f32_e32 v54, v41, v35
	v_add_co_u32 v45, s1, s10, v45
	s_wait_alu 0xf1ff
	v_add_co_ci_u32_e64 v50, null, s11, 0, s1
	v_mul_f32_e32 v51, v42, v35
	s_delay_alu instid0(VALU_DEP_3) | instskip(SKIP_1) | instid1(VALU_DEP_3)
	v_add_co_u32 v45, s1, v45, v47
	s_wait_alu 0xf1ff
	v_add_co_ci_u32_e64 v46, s1, v50, v46, s1
	v_mul_f32_e32 v50, v37, v33
	ds_load_2addr_b64 v[110:113], v49 offset0:112 offset1:190
	v_mul_f32_e32 v47, v38, v33
	s_wait_loadcnt_dscnt 0x1
	v_mul_f32_e32 v55, v82, v29
	v_mul_f32_e32 v85, v81, v29
	v_dual_mul_f32 v115, v40, v33 :: v_dual_mul_f32 v118, v43, v35
	v_dual_mul_f32 v116, v39, v33 :: v_dual_mul_f32 v117, v44, v35
	v_dual_mul_f32 v119, v84, v29 :: v_dual_fmac_f32 v50, v38, v32
	v_mul_f32_e32 v120, v83, v29
	v_fma_f32 v37, v37, v32, -v47
	v_fma_f32 v38, v41, v34, -v51
	;; [unrolled: 1-line block ×4, first 2 shown]
	v_fmac_f32_e32 v116, v40, v32
	global_wb scope:SCOPE_SE
	s_wait_dscnt 0x0
	v_sub_f32_e32 v43, v37, v38
	s_barrier_signal -1
	s_barrier_wait -1
	v_mul_f32_e32 v86, v111, v31
	v_mul_f32_e32 v114, v110, v31
	;; [unrolled: 1-line block ×3, first 2 shown]
	v_dual_mul_f32 v122, v112, v31 :: v_dual_fmac_f32 v85, v82, v28
	v_fma_f32 v47, v81, v28, -v55
	v_fma_f32 v81, v110, v30, -v86
	v_fmac_f32_e32 v54, v42, v34
	v_fmac_f32_e32 v114, v111, v30
	v_fma_f32 v55, v83, v28, -v119
	v_fma_f32 v83, v112, v30, -v121
	v_fmac_f32_e32 v122, v113, v30
	v_sub_f32_e32 v113, v37, v81
	v_sub_f32_e32 v119, v114, v85
	v_dual_add_f32 v42, v38, v47 :: v_dual_sub_f32 v123, v85, v114
	v_dual_fmac_f32 v118, v44, v34 :: v_dual_sub_f32 v115, v38, v47
	v_dual_fmac_f32 v120, v84, v28 :: v_dual_add_f32 v111, v78, v50
	v_add_f32_e32 v51, v37, v81
	v_dual_add_f32 v40, v77, v37 :: v_dual_sub_f32 v117, v50, v54
	v_dual_sub_f32 v82, v50, v114 :: v_dual_add_f32 v125, v41, v55
	v_dual_sub_f32 v44, v81, v47 :: v_dual_add_f32 v121, v50, v114
	v_dual_sub_f32 v86, v38, v37 :: v_dual_sub_f32 v131, v41, v39
	v_dual_add_f32 v112, v54, v85 :: v_dual_add_f32 v133, v80, v116
	v_dual_add_f32 v124, v79, v39 :: v_dual_sub_f32 v137, v116, v118
	v_dual_add_f32 v130, v39, v83 :: v_dual_add_f32 v141, v40, v38
	v_fma_f32 v37, -0.5, v42, v77
	v_dual_sub_f32 v128, v39, v41 :: v_dual_add_f32 v139, v116, v122
	v_add_f32_e32 v134, v118, v120
	v_dual_sub_f32 v84, v54, v85 :: v_dual_sub_f32 v129, v83, v55
	v_dual_sub_f32 v110, v47, v81 :: v_dual_sub_f32 v127, v118, v120
	;; [unrolled: 1-line block ×3, first 2 shown]
	v_sub_f32_e32 v132, v55, v83
	v_add_f32_e32 v142, v43, v44
	v_add_f32_e32 v44, v111, v54
	v_fma_f32 v38, -0.5, v112, v78
	v_dual_add_f32 v54, v124, v41 :: v_dual_fmamk_f32 v43, v82, 0x3f737871, v37
	v_sub_f32_e32 v136, v41, v55
	v_fma_f32 v41, -0.5, v125, v79
	v_fma_f32 v79, -0.5, v130, v79
	;; [unrolled: 1-line block ×4, first 2 shown]
	v_dual_sub_f32 v126, v116, v122 :: v_dual_add_f32 v111, v50, v123
	v_dual_sub_f32 v138, v122, v120 :: v_dual_fmac_f32 v37, 0xbf737871, v82
	v_add_f32_e32 v47, v141, v47
	v_add_f32_e32 v78, v133, v118
	v_fma_f32 v42, -0.5, v134, v80
	s_delay_alu instid0(VALU_DEP_4)
	v_dual_fmac_f32 v80, -0.5, v139 :: v_dual_fmac_f32 v37, 0xbf167918, v84
	v_fmamk_f32 v77, v127, 0xbf737871, v79
	v_dual_fmac_f32 v79, 0x3f737871, v127 :: v_dual_sub_f32 v116, v118, v116
	v_dual_add_f32 v85, v44, v85 :: v_dual_fmamk_f32 v44, v113, 0xbf737871, v38
	v_sub_f32_e32 v140, v120, v122
	v_dual_add_f32 v86, v86, v110 :: v_dual_fmamk_f32 v51, v115, 0x3f737871, v40
	v_add_f32_e32 v110, v117, v119
	v_fmac_f32_e32 v40, 0xbf737871, v115
	v_dual_add_f32 v119, v54, v55 :: v_dual_fmamk_f32 v50, v84, 0xbf737871, v39
	v_dual_fmac_f32 v39, 0x3f737871, v84 :: v_dual_fmac_f32 v38, 0x3f737871, v113
	v_dual_add_f32 v112, v128, v129 :: v_dual_fmamk_f32 v55, v135, 0xbf737871, v42
	v_dual_add_f32 v117, v131, v132 :: v_dual_fmamk_f32 v54, v126, 0x3f737871, v41
	v_dual_add_f32 v81, v47, v81 :: v_dual_add_f32 v120, v78, v120
	v_fmac_f32_e32 v51, 0xbf167918, v113
	v_fmamk_f32 v78, v136, 0x3f737871, v80
	v_fmac_f32_e32 v41, 0xbf737871, v126
	v_fmac_f32_e32 v42, 0x3f737871, v135
	;; [unrolled: 1-line block ×3, first 2 shown]
	v_dual_add_f32 v118, v137, v138 :: v_dual_fmac_f32 v43, 0x3f167918, v84
	v_dual_fmac_f32 v44, 0xbf167918, v115 :: v_dual_lshlrev_b32 v47, 3, v93
	v_dual_fmac_f32 v79, 0xbf167918, v126 :: v_dual_add_f32 v116, v116, v140
	v_fmac_f32_e32 v39, 0xbf167918, v82
	v_dual_fmac_f32 v40, 0x3f167918, v113 :: v_dual_add_f32 v83, v119, v83
	v_fmac_f32_e32 v50, 0x3f167918, v82
	v_dual_fmac_f32 v38, 0x3f167918, v115 :: v_dual_fmac_f32 v77, 0x3f167918, v126
	v_fmac_f32_e32 v54, 0x3f167918, v127
	v_dual_add_f32 v84, v120, v122 :: v_dual_fmac_f32 v55, 0xbf167918, v136
	v_fmac_f32_e32 v78, 0xbf167918, v135
	v_dual_add_f32 v82, v85, v114 :: v_dual_fmac_f32 v41, 0xbf167918, v127
	v_fmac_f32_e32 v42, 0x3f167918, v136
	v_fmac_f32_e32 v80, 0x3f167918, v135
	v_dual_fmac_f32 v43, 0x3e9e377a, v142 :: v_dual_fmac_f32 v40, 0x3e9e377a, v111
	s_delay_alu instid0(VALU_DEP_4)
	v_dual_fmac_f32 v44, 0x3e9e377a, v110 :: v_dual_fmac_f32 v41, 0x3e9e377a, v112
	v_dual_fmac_f32 v50, 0x3e9e377a, v86 :: v_dual_fmac_f32 v51, 0x3e9e377a, v111
	;; [unrolled: 1-line block ×7, first 2 shown]
	global_inv scope:SCOPE_SE
	ds_store_2addr_b64 v94, v[81:82], v[43:44] offset1:78
	ds_store_2addr_b64 v94, v[50:51], v[39:40] offset0:156 offset1:234
	ds_store_2addr_b64 v48, v[37:38], v[83:84] offset0:56 offset1:134
	ds_store_2addr_b64 v36, v[54:55], v[77:78] offset0:84 offset1:162
	ds_store_2addr_b64 v49, v[79:80], v[41:42] offset0:112 offset1:190
	global_wb scope:SCOPE_SE
	s_wait_dscnt 0x0
	s_barrier_signal -1
	s_barrier_wait -1
	global_inv scope:SCOPE_SE
	s_clause 0x4
	global_load_b64 v[81:82], v[45:46], off offset:3104
	global_load_b64 v[85:86], v[45:46], off offset:3728
	;; [unrolled: 1-line block ×5, first 2 shown]
	ds_load_2addr_b64 v[37:40], v48 offset0:56 offset1:134
	ds_load_2addr_b64 v[41:44], v36 offset0:84 offset1:162
	;; [unrolled: 1-line block ×3, first 2 shown]
	ds_load_2addr_b64 v[114:117], v94 offset1:78
	ds_load_2addr_b64 v[118:121], v94 offset0:156 offset1:234
	s_wait_loadcnt_dscnt 0x404
	v_mul_f32_e32 v45, v40, v82
	v_mul_f32_e32 v46, v39, v82
	s_wait_loadcnt_dscnt 0x303
	v_mul_f32_e32 v50, v42, v86
	v_mul_f32_e32 v51, v41, v86
	s_wait_loadcnt 0x2
	v_mul_f32_e32 v54, v44, v78
	v_fma_f32 v39, v39, v81, -v45
	v_mul_f32_e32 v55, v43, v78
	s_wait_loadcnt_dscnt 0x102
	v_mul_f32_e32 v122, v111, v80
	v_mul_f32_e32 v123, v110, v80
	s_wait_loadcnt 0x0
	v_mul_f32_e32 v124, v113, v84
	v_mul_f32_e32 v125, v112, v84
	v_fma_f32 v41, v41, v85, -v50
	v_fmac_f32_e32 v51, v42, v85
	s_wait_dscnt 0x1
	v_dual_sub_f32 v39, v114, v39 :: v_dual_fmac_f32 v46, v40, v81
	v_fma_f32 v43, v43, v77, -v54
	v_fmac_f32_e32 v55, v44, v77
	v_fma_f32 v45, v110, v79, -v122
	v_fmac_f32_e32 v123, v111, v79
	v_fma_f32 v50, v112, v83, -v124
	v_dual_fmac_f32 v125, v113, v83 :: v_dual_sub_f32 v40, v115, v46
	v_dual_sub_f32 v41, v116, v41 :: v_dual_sub_f32 v42, v117, v51
	s_wait_dscnt 0x0
	v_sub_f32_e32 v43, v118, v43
	v_dual_sub_f32 v44, v119, v55 :: v_dual_sub_f32 v45, v120, v45
	v_sub_f32_e32 v46, v121, v123
	v_dual_sub_f32 v50, v37, v50 :: v_dual_sub_f32 v51, v38, v125
	v_fma_f32 v54, v114, 2.0, -v39
	v_fma_f32 v55, v115, 2.0, -v40
	;; [unrolled: 1-line block ×10, first 2 shown]
	ds_store_b64 v94, v[39:40] offset:3120
	ds_store_2addr_b64 v94, v[54:55], v[110:111] offset1:78
	ds_store_2addr_b64 v94, v[112:113], v[114:115] offset0:156 offset1:234
	ds_store_2addr_b64 v108, v[43:44], v[45:46] offset0:34 offset1:112
	ds_store_b64 v94, v[37:38] offset:2496
	ds_store_b64 v94, v[41:42] offset:3744
	ds_store_b64 v107, v[50:51] offset:5616
	global_wb scope:SCOPE_SE
	s_wait_dscnt 0x0
	s_barrier_signal -1
	s_barrier_wait -1
	global_inv scope:SCOPE_SE
	s_clause 0x9
	global_load_b64 v[45:46], v[52:53], off offset:6240
	global_load_b64 v[54:55], v47, s[8:9] offset:3120
	global_load_b64 v[118:119], v47, s[8:9] offset:624
	;; [unrolled: 1-line block ×9, first 2 shown]
	ds_load_2addr_b64 v[37:40], v94 offset1:78
	ds_load_2addr_b64 v[41:44], v48 offset0:56 offset1:134
	ds_load_2addr_b64 v[50:53], v36 offset0:84 offset1:162
	;; [unrolled: 1-line block ×4, first 2 shown]
	s_wait_loadcnt_dscnt 0x904
	v_mul_f32_e32 v108, v38, v46
	v_mul_f32_e32 v47, v37, v46
	s_wait_loadcnt_dscnt 0x803
	v_mul_f32_e32 v135, v44, v55
	v_mul_f32_e32 v134, v43, v55
	s_wait_loadcnt 0x7
	v_mul_f32_e32 v136, v40, v119
	v_mul_f32_e32 v55, v39, v119
	s_wait_loadcnt_dscnt 0x602
	v_mul_f32_e32 v137, v51, v121
	s_wait_loadcnt_dscnt 0x501
	v_dual_mul_f32 v119, v50, v121 :: v_dual_mul_f32 v138, v111, v123
	v_mul_f32_e32 v121, v110, v123
	s_wait_loadcnt 0x4
	v_mul_f32_e32 v139, v53, v125
	s_wait_loadcnt 0x3
	v_dual_mul_f32 v123, v52, v125 :: v_dual_mul_f32 v140, v113, v127
	v_fmac_f32_e32 v47, v38, v45
	v_mul_f32_e32 v125, v112, v127
	s_wait_loadcnt_dscnt 0x200
	v_mul_f32_e32 v141, v115, v129
	v_mul_f32_e32 v127, v114, v129
	s_wait_loadcnt 0x1
	v_dual_mul_f32 v142, v42, v131 :: v_dual_fmac_f32 v55, v40, v118
	v_mul_f32_e32 v129, v41, v131
	s_wait_loadcnt 0x0
	v_mul_f32_e32 v143, v117, v133
	v_mul_f32_e32 v131, v116, v133
	v_fma_f32 v46, v37, v45, -v108
	v_fma_f32 v133, v43, v54, -v135
	v_dual_fmac_f32 v134, v44, v54 :: v_dual_fmac_f32 v119, v51, v120
	v_fma_f32 v54, v39, v118, -v136
	v_fma_f32 v118, v50, v120, -v137
	;; [unrolled: 1-line block ×3, first 2 shown]
	v_fmac_f32_e32 v121, v111, v122
	v_fma_f32 v122, v52, v124, -v139
	v_dual_fmac_f32 v123, v53, v124 :: v_dual_add_nc_u32 v108, 0x400, v94
	v_fma_f32 v124, v112, v126, -v140
	v_fmac_f32_e32 v125, v113, v126
	v_fma_f32 v126, v114, v128, -v141
	v_fmac_f32_e32 v127, v115, v128
	;; [unrolled: 2-line block ×4, first 2 shown]
	ds_store_2addr_b64 v94, v[46:47], v[54:55] offset1:78
	ds_store_2addr_b64 v36, v[118:119], v[122:123] offset0:84 offset1:162
	ds_store_2addr_b64 v94, v[120:121], v[124:125] offset0:156 offset1:234
	;; [unrolled: 1-line block ×4, first 2 shown]
	global_wb scope:SCOPE_SE
	s_wait_dscnt 0x0
	s_barrier_signal -1
	s_barrier_wait -1
	global_inv scope:SCOPE_SE
	ds_load_2addr_b64 v[37:40], v94 offset1:78
	ds_load_2addr_b64 v[41:44], v48 offset0:56 offset1:134
	ds_load_2addr_b64 v[50:53], v36 offset0:84 offset1:162
	;; [unrolled: 1-line block ×4, first 2 shown]
	global_wb scope:SCOPE_SE
	s_wait_dscnt 0x0
	s_barrier_signal -1
	s_barrier_wait -1
	global_inv scope:SCOPE_SE
	v_sub_f32_e32 v54, v37, v43
	v_dual_sub_f32 v118, v39, v50 :: v_dual_sub_f32 v55, v38, v44
	v_dual_sub_f32 v119, v40, v51 :: v_dual_sub_f32 v122, v110, v52
	;; [unrolled: 1-line block ×3, first 2 shown]
	v_sub_f32_e32 v115, v113, v115
	v_dual_sub_f32 v46, v41, v116 :: v_dual_sub_f32 v47, v42, v117
	v_fma_f32 v52, v37, 2.0, -v54
	v_fma_f32 v53, v38, 2.0, -v55
	;; [unrolled: 1-line block ×10, first 2 shown]
	ds_store_b128 v99, v[52:55]
	ds_store_b128 v100, v[116:119]
	;; [unrolled: 1-line block ×5, first 2 shown]
	global_wb scope:SCOPE_SE
	s_wait_dscnt 0x0
	s_barrier_signal -1
	s_barrier_wait -1
	global_inv scope:SCOPE_SE
	ds_load_2addr_b64 v[36:39], v94 offset1:78
	ds_load_2addr_b64 v[40:43], v108 offset0:28 offset1:132
	ds_load_2addr_b64 v[52:55], v49 offset0:8 offset1:86
	;; [unrolled: 1-line block ×3, first 2 shown]
	ds_load_b64 v[44:45], v94 offset:5408
	s_and_saveexec_b32 s1, vcc_lo
	s_cbranch_execz .LBB0_11
; %bb.10:
	ds_load_b64 v[46:47], v94 offset:1872
	ds_load_b64 v[91:92], v94 offset:3952
	;; [unrolled: 1-line block ×3, first 2 shown]
.LBB0_11:
	s_wait_alu 0xfffe
	s_or_b32 exec_lo, exec_lo, s1
	s_wait_dscnt 0x2
	v_dual_mul_f32 v99, v9, v43 :: v_dual_mul_f32 v102, v11, v52
	v_dual_mul_f32 v100, v9, v42 :: v_dual_mul_f32 v101, v11, v53
	s_wait_dscnt 0x1
	s_delay_alu instid0(VALU_DEP_2)
	v_dual_mul_f32 v110, v9, v92 :: v_dual_fmac_f32 v99, v8, v42
	global_wb scope:SCOPE_SE
	s_wait_dscnt 0x0
	v_fma_f32 v42, v8, v43, -v100
	v_mul_f32_e32 v43, v9, v49
	v_fmac_f32_e32 v101, v10, v52
	v_mul_f32_e32 v52, v9, v48
	v_fma_f32 v100, v10, v53, -v102
	s_delay_alu instid0(VALU_DEP_4) | instskip(SKIP_1) | instid1(VALU_DEP_4)
	v_dual_mul_f32 v102, v11, v55 :: v_dual_fmac_f32 v43, v8, v48
	v_mul_f32_e32 v108, v9, v51
	v_fma_f32 v49, v8, v49, -v52
	s_delay_alu instid0(VALU_DEP_3) | instskip(SKIP_1) | instid1(VALU_DEP_4)
	v_dual_mul_f32 v109, v11, v45 :: v_dual_fmac_f32 v102, v10, v54
	v_mul_f32_e32 v52, v9, v50
	v_dual_fmac_f32 v108, v8, v50 :: v_dual_mul_f32 v9, v9, v91
	v_mul_f32_e32 v50, v11, v44
	s_delay_alu instid0(VALU_DEP_4) | instskip(NEXT) | instid1(VALU_DEP_4)
	v_dual_mul_f32 v48, v11, v54 :: v_dual_fmac_f32 v109, v10, v44
	v_fma_f32 v51, v8, v51, -v52
	s_barrier_signal -1
	s_delay_alu instid0(VALU_DEP_3)
	v_fma_f32 v44, v10, v45, -v50
	v_dual_mul_f32 v45, v11, v90 :: v_dual_fmac_f32 v110, v8, v91
	v_mul_f32_e32 v11, v11, v89
	v_fma_f32 v48, v10, v55, -v48
	v_fma_f32 v91, v8, v92, -v9
	v_dual_add_f32 v8, v99, v101 :: v_dual_add_f32 v9, v36, v99
	v_fmac_f32_e32 v45, v10, v89
	v_fma_f32 v89, v10, v90, -v11
	v_add_f32_e32 v10, v42, v100
	s_delay_alu instid0(VALU_DEP_4) | instskip(SKIP_2) | instid1(VALU_DEP_4)
	v_fma_f32 v52, -0.5, v8, v36
	v_dual_sub_f32 v11, v42, v100 :: v_dual_add_f32 v8, v9, v101
	v_add_f32_e32 v9, v37, v42
	v_fma_f32 v53, -0.5, v10, v37
	v_sub_f32_e32 v36, v99, v101
	v_dual_add_f32 v37, v43, v102 :: v_dual_add_f32 v42, v38, v43
	s_delay_alu instid0(VALU_DEP_4) | instskip(NEXT) | instid1(VALU_DEP_3)
	v_dual_add_f32 v9, v9, v100 :: v_dual_fmamk_f32 v10, v11, 0xbf5db3d7, v52
	v_dual_fmac_f32 v52, 0x3f5db3d7, v11 :: v_dual_fmamk_f32 v11, v36, 0x3f5db3d7, v53
	v_fmac_f32_e32 v53, 0xbf5db3d7, v36
	v_dual_add_f32 v36, v49, v48 :: v_dual_sub_f32 v43, v43, v102
	v_fma_f32 v38, -0.5, v37, v38
	v_dual_sub_f32 v37, v49, v48 :: v_dual_add_f32 v54, v42, v102
	s_delay_alu instid0(VALU_DEP_3) | instskip(SKIP_1) | instid1(VALU_DEP_3)
	v_dual_add_f32 v42, v39, v49 :: v_dual_fmac_f32 v39, -0.5, v36
	v_add_f32_e32 v49, v41, v51
	v_fmamk_f32 v36, v37, 0xbf5db3d7, v38
	s_delay_alu instid0(VALU_DEP_3) | instskip(NEXT) | instid1(VALU_DEP_4)
	v_dual_fmac_f32 v38, 0x3f5db3d7, v37 :: v_dual_add_f32 v55, v42, v48
	v_dual_fmamk_f32 v37, v43, 0x3f5db3d7, v39 :: v_dual_add_f32 v42, v108, v109
	v_dual_fmac_f32 v39, 0xbf5db3d7, v43 :: v_dual_add_f32 v48, v40, v108
	v_add_f32_e32 v43, v51, v44
	v_add_f32_e32 v49, v49, v44
	s_delay_alu instid0(VALU_DEP_4)
	v_fma_f32 v40, -0.5, v42, v40
	v_sub_f32_e32 v92, v110, v45
	v_add_f32_e32 v48, v48, v109
	v_dual_sub_f32 v42, v51, v44 :: v_dual_fmac_f32 v41, -0.5, v43
	v_dual_sub_f32 v43, v108, v109 :: v_dual_add_f32 v44, v46, v110
	s_barrier_wait -1
	s_delay_alu instid0(VALU_DEP_2) | instskip(SKIP_1) | instid1(VALU_DEP_3)
	v_fmamk_f32 v50, v42, 0xbf5db3d7, v40
	v_fmac_f32_e32 v40, 0x3f5db3d7, v42
	v_dual_add_f32 v42, v110, v45 :: v_dual_fmamk_f32 v51, v43, 0x3f5db3d7, v41
	v_fmac_f32_e32 v41, 0xbf5db3d7, v43
	v_add_f32_e32 v43, v91, v89
	global_inv scope:SCOPE_SE
	v_fmac_f32_e32 v46, -0.5, v42
	v_sub_f32_e32 v90, v91, v89
	v_add_f32_e32 v91, v47, v91
	v_dual_fmac_f32 v47, -0.5, v43 :: v_dual_add_f32 v42, v44, v45
	ds_store_2addr_b64 v106, v[8:9], v[10:11] offset1:2
	ds_store_b64 v106, v[52:53] offset:32
	ds_store_2addr_b64 v105, v[54:55], v[36:37] offset1:2
	ds_store_b64 v105, v[38:39] offset:32
	;; [unrolled: 2-line block ×3, first 2 shown]
	v_dual_fmamk_f32 v44, v90, 0xbf5db3d7, v46 :: v_dual_add_f32 v43, v91, v89
	v_dual_fmac_f32 v46, 0x3f5db3d7, v90 :: v_dual_fmamk_f32 v45, v92, 0x3f5db3d7, v47
	v_fmac_f32_e32 v47, 0xbf5db3d7, v92
	s_and_saveexec_b32 s1, vcc_lo
	s_cbranch_execz .LBB0_13
; %bb.12:
	v_mul_u32_u24_e32 v89, 6, v103
	s_delay_alu instid0(VALU_DEP_1) | instskip(NEXT) | instid1(VALU_DEP_1)
	v_or_b32_e32 v89, v89, v98
	v_lshl_add_u32 v89, v89, 3, v95
	ds_store_2addr_b64 v89, v[42:43], v[44:45] offset1:2
	ds_store_b64 v89, v[46:47] offset:32
.LBB0_13:
	s_wait_alu 0xfffe
	s_or_b32 exec_lo, exec_lo, s1
	global_wb scope:SCOPE_SE
	s_wait_dscnt 0x0
	s_barrier_signal -1
	s_barrier_wait -1
	global_inv scope:SCOPE_SE
	s_and_saveexec_b32 s1, s0
	s_cbranch_execz .LBB0_15
; %bb.14:
	v_add_nc_u32_e32 v36, 0x400, v94
	v_add_nc_u32_e32 v40, 0x800, v94
	;; [unrolled: 1-line block ×4, first 2 shown]
	ds_load_2addr_b64 v[8:11], v94 offset1:60
	ds_load_2addr_b64 v[52:55], v94 offset0:120 offset1:180
	ds_load_2addr_b64 v[36:39], v36 offset0:112 offset1:172
	;; [unrolled: 1-line block ×5, first 2 shown]
	ds_load_b64 v[87:88], v94 offset:5760
.LBB0_15:
	s_wait_alu 0xfffe
	s_or_b32 exec_lo, exec_lo, s1
	v_add_nc_u32_e32 v90, 0x4e0, v107
	v_add_nc_u32_e32 v91, 0x750, v107
	;; [unrolled: 1-line block ×3, first 2 shown]
	global_wb scope:SCOPE_SE
	s_wait_dscnt 0x0
	s_barrier_signal -1
	s_barrier_wait -1
	global_inv scope:SCOPE_SE
	s_and_saveexec_b32 s1, s0
	s_cbranch_execz .LBB0_17
; %bb.16:
	v_mul_f32_e32 v98, v17, v11
	v_dual_mul_f32 v92, v27, v88 :: v_dual_mul_f32 v17, v17, v10
	v_mul_f32_e32 v99, v27, v87
	v_mul_f32_e32 v27, v25, v47
	;; [unrolled: 1-line block ×3, first 2 shown]
	s_delay_alu instid0(VALU_DEP_4) | instskip(SKIP_1) | instid1(VALU_DEP_4)
	v_dual_fmac_f32 v92, v26, v87 :: v_dual_mul_f32 v87, v19, v53
	v_fmac_f32_e32 v98, v16, v10
	v_fmac_f32_e32 v27, v24, v46
	v_fma_f32 v26, v26, v88, -v99
	v_fma_f32 v88, v16, v11, -v17
	s_delay_alu instid0(VALU_DEP_4) | instskip(SKIP_1) | instid1(VALU_DEP_3)
	v_dual_mul_f32 v16, v25, v46 :: v_dual_sub_f32 v11, v98, v92
	v_dual_fmac_f32 v87, v18, v52 :: v_dual_fmac_f32 v100, v20, v42
	v_add_f32_e32 v46, v26, v88
	s_delay_alu instid0(VALU_DEP_3) | instskip(SKIP_2) | instid1(VALU_DEP_4)
	v_fma_f32 v24, v24, v47, -v16
	v_dual_mul_f32 v17, v19, v52 :: v_dual_mul_f32 v52, v13, v55
	v_dual_mul_f32 v99, 0xbf29c268, v11 :: v_dual_mul_f32 v16, v23, v44
	v_mul_f32_e32 v143, 0x3f116cb1, v46
	s_delay_alu instid0(VALU_DEP_3) | instskip(NEXT) | instid1(VALU_DEP_4)
	v_fma_f32 v47, v18, v53, -v17
	v_fmac_f32_e32 v52, v12, v54
	s_delay_alu instid0(VALU_DEP_4)
	v_dual_sub_f32 v10, v87, v27 :: v_dual_fmamk_f32 v19, v46, 0xbf3f9e67, v99
	v_mul_f32_e32 v25, v23, v45
	v_mul_f32_e32 v17, v13, v54
	;; [unrolled: 1-line block ×4, first 2 shown]
	v_fma_f32 v99, 0xbf3f9e67, v46, -v99
	v_dual_fmac_f32 v25, v22, v44 :: v_dual_add_f32 v44, v24, v47
	v_fma_f32 v22, v22, v45, -v16
	v_fma_f32 v45, v12, v55, -v17
	v_mul_f32_e32 v23, 0x3f7e222b, v10
	s_delay_alu instid0(VALU_DEP_4) | instskip(SKIP_1) | instid1(VALU_DEP_4)
	v_dual_sub_f32 v13, v52, v25 :: v_dual_add_f32 v12, v9, v19
	v_mul_f32_e32 v55, v15, v37
	v_add_f32_e32 v54, v22, v45
	s_delay_alu instid0(VALU_DEP_4) | instskip(NEXT) | instid1(VALU_DEP_4)
	v_fmamk_f32 v16, v44, 0x3df6dbef, v23
	v_mul_f32_e32 v53, 0xbf52af12, v13
	v_dual_mul_f32 v15, v15, v36 :: v_dual_fmac_f32 v42, v0, v38
	v_fmac_f32_e32 v55, v14, v36
	s_delay_alu instid0(VALU_DEP_3) | instskip(SKIP_1) | instid1(VALU_DEP_4)
	v_dual_add_f32 v16, v16, v12 :: v_dual_fmamk_f32 v17, v54, 0x3f116cb1, v53
	v_fma_f32 v43, v20, v43, -v18
	v_fma_f32 v102, v14, v37, -v15
	s_delay_alu instid0(VALU_DEP_4) | instskip(SKIP_2) | instid1(VALU_DEP_4)
	v_dual_sub_f32 v12, v55, v100 :: v_dual_mul_f32 v1, v1, v38
	v_mul_f32_e32 v101, v7, v41
	v_add_f32_e32 v15, v27, v87
	v_add_f32_e32 v38, v43, v102
	s_delay_alu instid0(VALU_DEP_4)
	v_mul_f32_e32 v20, 0x3e750f2a, v12
	v_sub_f32_e32 v107, v47, v24
	v_fmac_f32_e32 v101, v6, v40
	v_mul_f32_e32 v14, v7, v40
	v_fma_f32 v23, 0x3df6dbef, v44, -v23
	v_dual_mul_f32 v104, v3, v49 :: v_dual_mul_f32 v105, v5, v51
	s_delay_alu instid0(VALU_DEP_4) | instskip(NEXT) | instid1(VALU_DEP_4)
	v_sub_f32_e32 v7, v42, v101
	v_fma_f32 v40, v6, v41, -v14
	v_fma_f32 v41, v0, v39, -v1
	s_delay_alu instid0(VALU_DEP_4) | instskip(SKIP_2) | instid1(VALU_DEP_4)
	v_fmac_f32_e32 v104, v2, v48
	v_dual_add_f32 v0, v17, v16 :: v_dual_fmamk_f32 v1, v38, 0xbf788fa5, v20
	v_mul_f32_e32 v21, 0x3eedf032, v7
	v_add_f32_e32 v103, v40, v41
	v_sub_f32_e32 v106, v88, v26
	v_add_f32_e32 v14, v92, v98
	v_add_f32_e32 v0, v1, v0
	v_mul_f32_e32 v3, v3, v48
	v_fmamk_f32 v1, v103, 0x3f62ad3f, v21
	v_fmac_f32_e32 v105, v4, v50
	v_mul_f32_e32 v36, 0xbf29c268, v106
	v_dual_mul_f32 v37, 0x3f7e222b, v107 :: v_dual_add_f32 v16, v25, v52
	s_delay_alu instid0(VALU_DEP_4) | instskip(NEXT) | instid1(VALU_DEP_4)
	v_add_f32_e32 v0, v1, v0
	v_dual_sub_f32 v6, v104, v105 :: v_dual_mul_f32 v1, v5, v50
	s_delay_alu instid0(VALU_DEP_4) | instskip(SKIP_4) | instid1(VALU_DEP_4)
	v_fma_f32 v5, 0xbf3f9e67, v14, -v36
	v_sub_f32_e32 v50, v45, v22
	v_fma_f32 v49, v2, v49, -v3
	v_fma_f32 v2, 0x3df6dbef, v15, -v37
	;; [unrolled: 1-line block ×3, first 2 shown]
	v_dual_add_f32 v1, v8, v5 :: v_dual_mul_f32 v4, 0xbf52af12, v50
	v_dual_sub_f32 v51, v102, v43 :: v_dual_mul_f32 v110, 0xbf788fa5, v46
	s_delay_alu instid0(VALU_DEP_3) | instskip(NEXT) | instid1(VALU_DEP_3)
	v_dual_mul_f32 v5, 0xbf6f5d39, v6 :: v_dual_add_f32 v108, v48, v49
	v_dual_add_f32 v1, v2, v1 :: v_dual_add_f32 v18, v101, v42
	s_delay_alu instid0(VALU_DEP_4) | instskip(SKIP_1) | instid1(VALU_DEP_4)
	v_fma_f32 v2, 0x3f116cb1, v16, -v4
	v_add_f32_e32 v17, v100, v55
	v_dual_fmamk_f32 v3, v108, 0xbeb58ec6, v5 :: v_dual_sub_f32 v112, v49, v48
	s_delay_alu instid0(VALU_DEP_3) | instskip(SKIP_1) | instid1(VALU_DEP_3)
	v_dual_sub_f32 v109, v41, v40 :: v_dual_add_f32 v2, v2, v1
	v_mul_f32_e32 v39, 0x3e750f2a, v51
	v_add_f32_e32 v1, v3, v0
	s_delay_alu instid0(VALU_DEP_4)
	v_mul_f32_e32 v114, 0xbf6f5d39, v112
	v_mul_f32_e32 v116, 0xbf3f9e67, v54
	;; [unrolled: 1-line block ×3, first 2 shown]
	v_fma_f32 v19, 0xbf788fa5, v17, -v39
	v_dual_add_f32 v99, v9, v99 :: v_dual_fmac_f32 v36, 0xbf3f9e67, v14
	v_mul_f32_e32 v128, 0xbf788fa5, v103
	v_dual_fmac_f32 v37, 0x3df6dbef, v15 :: v_dual_mul_f32 v126, 0x3df6dbef, v38
	s_delay_alu instid0(VALU_DEP_4)
	v_add_f32_e32 v0, v19, v2
	v_fmamk_f32 v2, v11, 0x3e750f2a, v110
	v_mul_f32_e32 v111, 0x3eedf032, v109
	v_add_f32_e32 v19, v105, v104
	v_fmac_f32_e32 v39, 0xbf788fa5, v17
	v_fmamk_f32 v125, v17, 0x3f116cb1, v124
	v_dual_add_f32 v2, v9, v2 :: v_dual_mul_f32 v113, 0x3f62ad3f, v44
	v_fma_f32 v3, 0x3f62ad3f, v18, -v111
	v_dual_mul_f32 v117, 0xbe750f2a, v106 :: v_dual_add_f32 v36, v8, v36
	v_dual_add_f32 v23, v23, v99 :: v_dual_fmac_f32 v4, 0x3f116cb1, v16
	s_delay_alu instid0(VALU_DEP_3)
	v_add_f32_e32 v0, v3, v0
	v_fma_f32 v3, 0xbeb58ec6, v19, -v114
	v_fmamk_f32 v115, v10, 0xbeedf032, v113
	v_fma_f32 v53, 0x3f116cb1, v54, -v53
	v_add_f32_e32 v36, v37, v36
	v_mul_f32_e32 v120, 0xbeb58ec6, v103
	v_add_f32_e32 v0, v3, v0
	v_dual_add_f32 v2, v115, v2 :: v_dual_fmamk_f32 v115, v13, 0x3f29c268, v116
	v_fmamk_f32 v3, v14, 0xbf788fa5, v117
	v_fma_f32 v20, 0xbf788fa5, v38, -v20
	v_mul_f32_e32 v127, 0x3f29c268, v107
	s_delay_alu instid0(VALU_DEP_4) | instskip(SKIP_3) | instid1(VALU_DEP_4)
	v_dual_add_f32 v23, v53, v23 :: v_dual_add_f32 v2, v115, v2
	v_mul_f32_e32 v119, 0x3eedf032, v107
	v_add_f32_e32 v3, v8, v3
	v_fma_f32 v21, 0x3f62ad3f, v103, -v21
	v_add_f32_e32 v20, v20, v23
	s_delay_alu instid0(VALU_DEP_4) | instskip(SKIP_1) | instid1(VALU_DEP_3)
	v_dual_add_f32 v4, v4, v36 :: v_dual_fmamk_f32 v121, v15, 0x3f62ad3f, v119
	v_mul_f32_e32 v118, 0x3f116cb1, v38
	v_dual_fmac_f32 v111, 0x3f62ad3f, v18 :: v_dual_add_f32 v20, v21, v20
	s_delay_alu instid0(VALU_DEP_3) | instskip(NEXT) | instid1(VALU_DEP_3)
	v_dual_add_f32 v4, v39, v4 :: v_dual_add_f32 v3, v121, v3
	v_fmamk_f32 v115, v12, 0xbf52af12, v118
	v_mul_f32_e32 v122, 0xbf29c268, v50
	s_delay_alu instid0(VALU_DEP_3) | instskip(NEXT) | instid1(VALU_DEP_3)
	v_dual_mul_f32 v139, 0x3f116cb1, v103 :: v_dual_add_f32 v4, v111, v4
	v_dual_mul_f32 v135, 0x3f52af12, v112 :: v_dual_add_f32 v2, v115, v2
	v_fmamk_f32 v115, v7, 0x3f6f5d39, v120
	v_mul_f32_e32 v123, 0x3df6dbef, v108
	v_fmamk_f32 v121, v16, 0xbf3f9e67, v122
	v_fmac_f32_e32 v114, 0xbeb58ec6, v19
	v_fmamk_f32 v142, v7, 0x3f52af12, v139
	s_delay_alu instid0(VALU_DEP_4) | instskip(NEXT) | instid1(VALU_DEP_3)
	v_dual_add_f32 v2, v115, v2 :: v_dual_fmamk_f32 v115, v6, 0xbf7e222b, v123
	v_dual_add_f32 v121, v121, v3 :: v_dual_add_f32 v4, v114, v4
	v_dual_mul_f32 v131, 0x3df6dbef, v46 :: v_dual_add_f32 v88, v88, v9
	s_delay_alu instid0(VALU_DEP_3) | instskip(SKIP_1) | instid1(VALU_DEP_4)
	v_add_f32_e32 v3, v115, v2
	v_mul_f32_e32 v115, 0xbf6f5d39, v109
	v_dual_add_f32 v2, v125, v121 :: v_dual_fmamk_f32 v145, v11, 0x3f52af12, v143
	s_delay_alu instid0(VALU_DEP_4) | instskip(SKIP_1) | instid1(VALU_DEP_4)
	v_fmamk_f32 v37, v11, 0x3f7e222b, v131
	v_fma_f32 v5, 0xbeb58ec6, v108, -v5
	v_fmamk_f32 v99, v18, 0xbeb58ec6, v115
	v_mul_f32_e32 v111, 0xbf6f5d39, v106
	v_fmamk_f32 v36, v15, 0xbf3f9e67, v127
	v_mul_f32_e32 v129, 0x3eedf032, v50
	v_dual_add_f32 v5, v5, v20 :: v_dual_mul_f32 v114, 0xbf7e222b, v51
	v_add_f32_e32 v2, v99, v2
	v_mul_f32_e32 v99, 0xbeb58ec6, v46
	v_mul_f32_e32 v125, 0x3f62ad3f, v54
	v_dual_mul_f32 v155, 0xbe750f2a, v50 :: v_dual_fmac_f32 v110, 0xbe750f2a, v11
	v_mul_f32_e32 v137, 0x3f62ad3f, v38
	s_delay_alu instid0(VALU_DEP_4) | instskip(SKIP_3) | instid1(VALU_DEP_4)
	v_fmamk_f32 v21, v11, 0x3f6f5d39, v99
	v_mul_f32_e32 v134, 0xbeb58ec6, v54
	v_mul_f32_e32 v46, 0x3f62ad3f, v46
	;; [unrolled: 1-line block ×3, first 2 shown]
	v_dual_mul_f32 v152, 0xbf6f5d39, v107 :: v_dual_add_f32 v21, v9, v21
	v_mul_f32_e32 v121, 0x3f7e222b, v112
	v_mul_f32_e32 v130, 0x3f116cb1, v108
	v_fmamk_f32 v157, v11, 0x3eedf032, v46
	v_mul_f32_e32 v153, 0x3df6dbef, v103
	v_mul_f32_e32 v132, 0x3e750f2a, v109
	v_fmamk_f32 v53, v19, 0x3df6dbef, v121
	v_fmac_f32_e32 v113, 0x3eedf032, v10
	v_add_f32_e32 v157, v9, v157
	v_fmac_f32_e32 v99, 0xbf6f5d39, v11
	s_delay_alu instid0(VALU_DEP_4)
	v_dual_fmamk_f32 v39, v18, 0xbf788fa5, v132 :: v_dual_add_f32 v2, v53, v2
	v_mul_f32_e32 v53, 0xbf3f9e67, v44
	v_fmac_f32_e32 v143, 0xbf52af12, v11
	v_fmac_f32_e32 v123, 0x3f7e222b, v6
	v_mul_f32_e32 v138, 0xbe750f2a, v107
	v_mul_f32_e32 v133, 0xbf788fa5, v44
	v_fmamk_f32 v23, v10, 0xbf29c268, v53
	v_mul_f32_e32 v44, 0x3f116cb1, v44
	v_fmac_f32_e32 v139, 0xbf52af12, v7
	v_fmamk_f32 v140, v15, 0xbf788fa5, v138
	v_mul_f32_e32 v136, 0xbf7e222b, v106
	v_dual_add_f32 v20, v23, v21 :: v_dual_fmamk_f32 v23, v14, 0xbeb58ec6, v111
	v_fmamk_f32 v159, v10, 0x3f52af12, v44
	v_mul_f32_e32 v141, 0x3f6f5d39, v50
	v_fmamk_f32 v154, v15, 0xbeb58ec6, v152
	s_delay_alu instid0(VALU_DEP_4) | instskip(SKIP_3) | instid1(VALU_DEP_4)
	v_dual_mul_f32 v144, 0xbf52af12, v109 :: v_dual_add_f32 v23, v8, v23
	v_add_f32_e32 v98, v8, v98
	v_mul_f32_e32 v148, 0xbf52af12, v106
	v_fmamk_f32 v156, v7, 0xbf7e222b, v153
	v_fmamk_f32 v147, v18, 0x3f116cb1, v144
	v_add_f32_e32 v23, v36, v23
	v_fmamk_f32 v36, v16, 0x3f62ad3f, v129
	v_fmamk_f32 v21, v13, 0xbeedf032, v125
	;; [unrolled: 1-line block ×3, first 2 shown]
	v_fmac_f32_e32 v125, 0x3eedf032, v13
	v_mul_f32_e32 v50, 0xbf7e222b, v50
	v_fmac_f32_e32 v116, 0xbf29c268, v13
	v_dual_add_f32 v20, v21, v20 :: v_dual_fmamk_f32 v21, v12, 0x3f7e222b, v126
	v_dual_add_f32 v151, v8, v151 :: v_dual_fmac_f32 v118, 0x3f52af12, v12
	v_fmac_f32_e32 v126, 0xbf7e222b, v12
	v_fmac_f32_e32 v120, 0xbf6f5d39, v7
	s_delay_alu instid0(VALU_DEP_4) | instskip(SKIP_2) | instid1(VALU_DEP_3)
	v_dual_add_f32 v20, v21, v20 :: v_dual_fmamk_f32 v21, v7, 0xbe750f2a, v128
	v_fmac_f32_e32 v128, 0x3e750f2a, v7
	v_fmac_f32_e32 v44, 0xbf52af12, v10
	v_dual_add_f32 v20, v21, v20 :: v_dual_add_f32 v21, v36, v23
	v_fmamk_f32 v36, v6, 0xbf52af12, v130
	v_fmamk_f32 v23, v17, 0x3df6dbef, v114
	s_delay_alu instid0(VALU_DEP_1) | instskip(NEXT) | instid1(VALU_DEP_3)
	v_dual_fmac_f32 v130, 0x3f52af12, v6 :: v_dual_add_f32 v23, v23, v21
	v_dual_add_f32 v21, v36, v20 :: v_dual_add_f32 v20, v9, v37
	v_fmamk_f32 v36, v10, 0x3e750f2a, v133
	v_fmamk_f32 v37, v19, 0x3f116cb1, v135
	s_delay_alu instid0(VALU_DEP_4) | instskip(SKIP_1) | instid1(VALU_DEP_4)
	v_add_f32_e32 v23, v39, v23
	v_fmamk_f32 v39, v14, 0x3df6dbef, v136
	v_dual_fmac_f32 v53, 0x3f29c268, v10 :: v_dual_add_f32 v20, v36, v20
	v_fmamk_f32 v36, v13, 0xbf6f5d39, v134
	v_fmac_f32_e32 v133, 0xbe750f2a, v10
	s_delay_alu instid0(VALU_DEP_4) | instskip(NEXT) | instid1(VALU_DEP_3)
	v_dual_add_f32 v39, v8, v39 :: v_dual_fmac_f32 v134, 0x3f6f5d39, v13
	v_add_f32_e32 v20, v36, v20
	v_fmamk_f32 v36, v12, 0xbeedf032, v137
	s_delay_alu instid0(VALU_DEP_1) | instskip(SKIP_1) | instid1(VALU_DEP_2)
	v_add_f32_e32 v36, v36, v20
	v_dual_add_f32 v20, v37, v23 :: v_dual_fmamk_f32 v37, v16, 0xbeb58ec6, v141
	v_add_f32_e32 v36, v142, v36
	v_dual_mul_f32 v142, 0xbf3f9e67, v108 :: v_dual_add_f32 v23, v140, v39
	v_mul_f32_e32 v140, 0x3eedf032, v51
	v_fmac_f32_e32 v131, 0xbf7e222b, v11
	s_delay_alu instid0(VALU_DEP_3) | instskip(NEXT) | instid1(VALU_DEP_4)
	v_fmamk_f32 v39, v6, 0x3f29c268, v142
	v_add_f32_e32 v23, v37, v23
	s_delay_alu instid0(VALU_DEP_4) | instskip(NEXT) | instid1(VALU_DEP_1)
	v_fmamk_f32 v37, v17, 0x3f62ad3f, v140
	v_dual_fmac_f32 v142, 0xbf29c268, v6 :: v_dual_add_f32 v23, v37, v23
	s_delay_alu instid0(VALU_DEP_4) | instskip(SKIP_2) | instid1(VALU_DEP_4)
	v_dual_add_f32 v37, v39, v36 :: v_dual_add_f32 v36, v9, v145
	v_fmamk_f32 v39, v10, 0x3f6f5d39, v146
	v_mul_f32_e32 v145, 0xbf788fa5, v54
	v_add_f32_e32 v23, v147, v23
	v_mul_f32_e32 v147, 0xbf29c268, v112
	s_delay_alu instid0(VALU_DEP_4) | instskip(NEXT) | instid1(VALU_DEP_4)
	v_dual_mul_f32 v149, 0xbf3f9e67, v38 :: v_dual_add_f32 v36, v39, v36
	v_fmamk_f32 v39, v13, 0x3e750f2a, v145
	v_fmac_f32_e32 v146, 0xbf6f5d39, v10
	s_delay_alu instid0(VALU_DEP_4) | instskip(SKIP_1) | instid1(VALU_DEP_4)
	v_fmamk_f32 v150, v19, 0xbf3f9e67, v147
	v_mul_f32_e32 v54, 0x3df6dbef, v54
	v_dual_add_f32 v36, v39, v36 :: v_dual_fmamk_f32 v39, v12, 0xbf29c268, v149
	v_fmac_f32_e32 v137, 0x3eedf032, v12
	v_fmac_f32_e32 v149, 0x3f29c268, v12
	s_delay_alu instid0(VALU_DEP_3) | instskip(SKIP_2) | instid1(VALU_DEP_3)
	v_dual_add_f32 v39, v39, v36 :: v_dual_add_f32 v36, v150, v23
	v_dual_add_f32 v23, v154, v151 :: v_dual_fmamk_f32 v150, v16, 0xbf788fa5, v155
	v_mul_f32_e32 v151, 0x3f29c268, v51
	v_dual_mul_f32 v154, 0x3f62ad3f, v108 :: v_dual_add_f32 v39, v156, v39
	s_delay_alu instid0(VALU_DEP_3) | instskip(NEXT) | instid1(VALU_DEP_3)
	v_dual_mul_f32 v156, 0x3f7e222b, v109 :: v_dual_add_f32 v23, v150, v23
	v_fmamk_f32 v150, v17, 0xbf3f9e67, v151
	s_delay_alu instid0(VALU_DEP_3) | instskip(SKIP_2) | instid1(VALU_DEP_3)
	v_fmamk_f32 v158, v6, 0xbeedf032, v154
	v_fmac_f32_e32 v154, 0x3eedf032, v6
	v_fmac_f32_e32 v46, 0xbeedf032, v11
	v_dual_add_f32 v39, v158, v39 :: v_dual_mul_f32 v158, 0x3eedf032, v112
	v_add_f32_e32 v23, v150, v23
	v_fmamk_f32 v150, v18, 0x3df6dbef, v156
	v_fmac_f32_e32 v153, 0x3f7e222b, v7
	s_delay_alu instid0(VALU_DEP_2) | instskip(SKIP_2) | instid1(VALU_DEP_1)
	v_dual_add_f32 v23, v150, v23 :: v_dual_add_f32 v150, v159, v157
	v_mul_f32_e32 v159, 0xbeb58ec6, v38
	v_fmamk_f32 v38, v19, 0x3f62ad3f, v158
	v_dual_add_f32 v38, v38, v23 :: v_dual_add_f32 v23, v47, v88
	v_dual_add_f32 v47, v87, v98 :: v_dual_mul_f32 v98, 0xbf3f9e67, v103
	v_fmac_f32_e32 v145, 0xbe750f2a, v13
	s_delay_alu instid0(VALU_DEP_3) | instskip(NEXT) | instid1(VALU_DEP_3)
	v_add_f32_e32 v23, v45, v23
	v_add_f32_e32 v45, v52, v47
	v_mul_f32_e32 v52, 0xbf52af12, v107
	s_delay_alu instid0(VALU_DEP_3) | instskip(NEXT) | instid1(VALU_DEP_3)
	v_add_f32_e32 v23, v102, v23
	v_add_f32_e32 v45, v55, v45
	s_delay_alu instid0(VALU_DEP_2) | instskip(NEXT) | instid1(VALU_DEP_2)
	v_add_f32_e32 v23, v41, v23
	v_add_f32_e32 v41, v42, v45
	s_delay_alu instid0(VALU_DEP_2) | instskip(NEXT) | instid1(VALU_DEP_2)
	;; [unrolled: 3-line block ×3, first 2 shown]
	v_add_f32_e32 v23, v48, v23
	v_add_f32_e32 v41, v105, v41
	s_delay_alu instid0(VALU_DEP_2) | instskip(NEXT) | instid1(VALU_DEP_1)
	v_dual_mul_f32 v48, 0xbf29c268, v109 :: v_dual_add_f32 v23, v40, v23
	v_dual_add_f32 v40, v101, v41 :: v_dual_add_f32 v23, v43, v23
	s_delay_alu instid0(VALU_DEP_1) | instskip(NEXT) | instid1(VALU_DEP_1)
	v_add_f32_e32 v40, v100, v40
	v_dual_add_f32 v22, v22, v23 :: v_dual_add_f32 v25, v25, v40
	v_add_f32_e32 v40, v9, v110
	v_fma_f32 v10, 0xbf3f9e67, v17, -v151
	s_delay_alu instid0(VALU_DEP_3) | instskip(NEXT) | instid1(VALU_DEP_3)
	v_dual_add_f32 v24, v24, v22 :: v_dual_add_f32 v27, v27, v25
	v_add_f32_e32 v40, v113, v40
	v_fmamk_f32 v157, v13, 0x3f7e222b, v54
	s_delay_alu instid0(VALU_DEP_3) | instskip(SKIP_4) | instid1(VALU_DEP_4)
	v_dual_fmac_f32 v54, 0xbf7e222b, v13 :: v_dual_add_f32 v25, v26, v24
	v_fma_f32 v26, 0xbf788fa5, v14, -v117
	v_dual_fmamk_f32 v103, v7, 0x3f29c268, v98 :: v_dual_add_f32 v24, v92, v27
	v_add_f32_e32 v27, v116, v40
	v_fma_f32 v40, 0x3f62ad3f, v15, -v119
	v_add_f32_e32 v26, v8, v26
	v_add_f32_e32 v150, v157, v150
	v_fma_f32 v92, 0xbeb58ec6, v15, -v152
	v_fma_f32 v13, 0x3df6dbef, v16, -v50
	s_delay_alu instid0(VALU_DEP_4) | instskip(SKIP_3) | instid1(VALU_DEP_4)
	v_dual_add_f32 v27, v118, v27 :: v_dual_add_f32 v26, v40, v26
	v_fma_f32 v40, 0xbf3f9e67, v16, -v122
	v_fmamk_f32 v55, v15, 0x3f116cb1, v52
	v_fmac_f32_e32 v98, 0xbf29c268, v7
	v_add_f32_e32 v27, v120, v27
	s_delay_alu instid0(VALU_DEP_4) | instskip(SKIP_1) | instid1(VALU_DEP_1)
	v_add_f32_e32 v26, v40, v26
	v_fma_f32 v40, 0x3f116cb1, v17, -v124
	v_dual_add_f32 v27, v123, v27 :: v_dual_add_f32 v26, v40, v26
	v_fma_f32 v40, 0xbeb58ec6, v18, -v115
	s_delay_alu instid0(VALU_DEP_1) | instskip(SKIP_2) | instid1(VALU_DEP_2)
	v_add_f32_e32 v26, v40, v26
	v_fma_f32 v40, 0x3df6dbef, v19, -v121
	v_mul_f32_e32 v49, 0xbf6f5d39, v51
	v_dual_mul_f32 v51, 0xbf788fa5, v108 :: v_dual_add_f32 v26, v40, v26
	v_fma_f32 v40, 0x3df6dbef, v14, -v136
	s_delay_alu instid0(VALU_DEP_1) | instskip(NEXT) | instid1(VALU_DEP_1)
	v_dual_mul_f32 v87, 0xbeedf032, v106 :: v_dual_add_f32 v40, v8, v40
	v_fmamk_f32 v47, v14, 0x3f62ad3f, v87
	s_delay_alu instid0(VALU_DEP_1) | instskip(NEXT) | instid1(VALU_DEP_1)
	v_add_f32_e32 v47, v8, v47
	v_add_f32_e32 v45, v55, v47
	v_fmamk_f32 v47, v16, 0x3df6dbef, v50
	s_delay_alu instid0(VALU_DEP_1) | instskip(SKIP_1) | instid1(VALU_DEP_1)
	v_add_f32_e32 v45, v47, v45
	v_fmamk_f32 v47, v17, 0xbeb58ec6, v49
	v_add_f32_e32 v41, v47, v45
	v_fmamk_f32 v45, v18, 0xbf3f9e67, v48
	v_mul_f32_e32 v47, 0xbe750f2a, v112
	s_delay_alu instid0(VALU_DEP_2) | instskip(NEXT) | instid1(VALU_DEP_2)
	v_add_f32_e32 v41, v45, v41
	v_fmamk_f32 v43, v19, 0xbf788fa5, v47
	s_delay_alu instid0(VALU_DEP_1) | instskip(SKIP_2) | instid1(VALU_DEP_3)
	v_dual_add_f32 v45, v9, v131 :: v_dual_add_f32 v22, v43, v41
	v_fma_f32 v43, 0xbf3f9e67, v15, -v127
	v_fmamk_f32 v157, v12, 0x3f6f5d39, v159
	v_add_f32_e32 v45, v133, v45
	v_add_f32_e32 v41, v9, v99
	v_fmac_f32_e32 v159, 0xbf6f5d39, v12
	v_fma_f32 v12, 0xbeb58ec6, v17, -v49
	s_delay_alu instid0(VALU_DEP_4) | instskip(SKIP_3) | instid1(VALU_DEP_4)
	v_dual_add_f32 v88, v157, v150 :: v_dual_add_f32 v45, v134, v45
	v_fmamk_f32 v55, v6, 0x3e750f2a, v51
	v_add_f32_e32 v41, v53, v41
	v_fma_f32 v53, 0xbf788fa5, v15, -v138
	v_add_f32_e32 v42, v103, v88
	v_fma_f32 v88, 0xbf3f9e67, v19, -v147
	s_delay_alu instid0(VALU_DEP_4) | instskip(NEXT) | instid1(VALU_DEP_3)
	v_add_f32_e32 v41, v125, v41
	v_dual_add_f32 v40, v53, v40 :: v_dual_add_f32 v23, v55, v42
	v_fma_f32 v42, 0xbeb58ec6, v14, -v111
	v_fma_f32 v53, 0xbeb58ec6, v16, -v141
	;; [unrolled: 1-line block ×3, first 2 shown]
	s_delay_alu instid0(VALU_DEP_3) | instskip(NEXT) | instid1(VALU_DEP_3)
	v_dual_add_f32 v41, v126, v41 :: v_dual_add_f32 v42, v8, v42
	v_add_f32_e32 v53, v53, v40
	s_delay_alu instid0(VALU_DEP_2) | instskip(SKIP_1) | instid1(VALU_DEP_1)
	v_dual_add_f32 v41, v128, v41 :: v_dual_add_f32 v42, v43, v42
	v_fma_f32 v43, 0x3f62ad3f, v16, -v129
	v_dual_add_f32 v41, v130, v41 :: v_dual_add_f32 v42, v43, v42
	v_fma_f32 v43, 0x3df6dbef, v17, -v114
	s_delay_alu instid0(VALU_DEP_1) | instskip(SKIP_1) | instid1(VALU_DEP_1)
	v_add_f32_e32 v42, v43, v42
	v_fma_f32 v43, 0xbf788fa5, v18, -v132
	v_add_f32_e32 v42, v43, v42
	v_fma_f32 v43, 0x3f116cb1, v19, -v135
	v_fmac_f32_e32 v51, 0xbe750f2a, v6
	s_delay_alu instid0(VALU_DEP_2)
	v_add_f32_e32 v40, v43, v42
	v_add_f32_e32 v42, v137, v45
	v_add_f32_e32 v43, v55, v53
	v_fma_f32 v45, 0x3f116cb1, v18, -v144
	v_fma_f32 v55, 0x3f116cb1, v14, -v148
	;; [unrolled: 1-line block ×3, first 2 shown]
	v_dual_add_f32 v53, v9, v143 :: v_dual_add_f32 v42, v139, v42
	s_delay_alu instid0(VALU_DEP_4) | instskip(NEXT) | instid1(VALU_DEP_4)
	v_add_f32_e32 v45, v45, v43
	v_add_f32_e32 v55, v8, v55
	;; [unrolled: 1-line block ×4, first 2 shown]
	v_fma_f32 v14, 0x3f116cb1, v15, -v52
	v_add_f32_e32 v53, v146, v53
	v_dual_add_f32 v43, v142, v42 :: v_dual_add_f32 v42, v88, v45
	v_add_f32_e32 v45, v92, v55
	v_fma_f32 v55, 0xbf788fa5, v16, -v155
	v_dual_add_f32 v9, v44, v9 :: v_dual_add_f32 v8, v14, v8
	v_add_f32_e32 v53, v145, v53
	v_fma_f32 v14, 0x3df6dbef, v18, -v156
	s_delay_alu instid0(VALU_DEP_4) | instskip(NEXT) | instid1(VALU_DEP_4)
	v_add_f32_e32 v45, v55, v45
	v_dual_add_f32 v9, v54, v9 :: v_dual_add_f32 v8, v13, v8
	v_mul_u32_u24_e32 v13, 0x4e, v97
	v_add_f32_e32 v11, v149, v53
	s_delay_alu instid0(VALU_DEP_4) | instskip(NEXT) | instid1(VALU_DEP_4)
	v_add_f32_e32 v10, v10, v45
	v_add_f32_e32 v9, v159, v9
	;; [unrolled: 1-line block ×3, first 2 shown]
	v_fma_f32 v8, 0xbf3f9e67, v18, -v48
	v_add_nc_u32_e32 v13, v13, v96
	v_dual_add_f32 v11, v153, v11 :: v_dual_add_f32 v10, v14, v10
	v_fma_f32 v12, 0x3f62ad3f, v19, -v158
	s_delay_alu instid0(VALU_DEP_4) | instskip(SKIP_2) | instid1(VALU_DEP_4)
	v_dual_add_f32 v9, v98, v9 :: v_dual_add_f32 v8, v8, v7
	v_fma_f32 v14, 0xbf788fa5, v19, -v47
	v_lshl_add_u32 v13, v13, 3, v95
	v_dual_add_f32 v7, v154, v11 :: v_dual_add_f32 v6, v12, v10
	s_delay_alu instid0(VALU_DEP_3)
	v_dual_add_f32 v9, v51, v9 :: v_dual_add_f32 v8, v14, v8
	ds_store_2addr_b64 v13, v[24:25], v[22:23] offset1:6
	ds_store_2addr_b64 v13, v[38:39], v[36:37] offset0:12 offset1:18
	ds_store_2addr_b64 v13, v[20:21], v[4:5] offset0:24 offset1:30
	;; [unrolled: 1-line block ×5, first 2 shown]
	ds_store_b64 v13, v[8:9] offset:576
.LBB0_17:
	s_wait_alu 0xfffe
	s_or_b32 exec_lo, exec_lo, s1
	global_wb scope:SCOPE_SE
	s_wait_dscnt 0x0
	s_barrier_signal -1
	s_barrier_wait -1
	global_inv scope:SCOPE_SE
	ds_load_2addr_b64 v[2:5], v94 offset0:156 offset1:234
	v_add_nc_u32_e32 v24, 0x800, v94
	v_add_nc_u32_e32 v1, 0xc00, v94
	;; [unrolled: 1-line block ×3, first 2 shown]
	s_mov_b32 s0, 0x15015015
	s_mov_b32 s1, 0x3f550150
	s_wait_dscnt 0x0
	v_mul_f32_e32 v22, v33, v3
	v_mul_f32_e32 v25, v33, v5
	ds_load_2addr_b64 v[6:9], v24 offset0:56 offset1:134
	ds_load_2addr_b64 v[10:13], v1 offset0:84 offset1:162
	;; [unrolled: 1-line block ×3, first 2 shown]
	ds_load_2addr_b64 v[18:21], v94 offset1:78
	v_mul_f32_e32 v23, v33, v2
	v_mul_f32_e32 v26, v33, v4
	v_fmac_f32_e32 v22, v32, v2
	global_wb scope:SCOPE_SE
	s_wait_dscnt 0x0
	s_barrier_signal -1
	s_barrier_wait -1
	global_inv scope:SCOPE_SE
	v_fmac_f32_e32 v25, v32, v4
	v_mul_f32_e32 v27, v35, v7
	v_dual_mul_f32 v33, v29, v11 :: v_dual_mul_f32 v2, v35, v6
	v_mul_f32_e32 v36, v31, v15
	v_fma_f32 v23, v32, v3, -v23
	v_dual_mul_f32 v3, v29, v10 :: v_dual_mul_f32 v38, v35, v9
	v_mul_f32_e32 v37, v31, v14
	s_delay_alu instid0(VALU_DEP_4) | instskip(SKIP_1) | instid1(VALU_DEP_4)
	v_dual_mul_f32 v35, v35, v8 :: v_dual_fmac_f32 v36, v30, v14
	v_fmac_f32_e32 v27, v34, v6
	v_dual_fmac_f32 v33, v28, v10 :: v_dual_fmac_f32 v38, v34, v8
	v_fma_f32 v39, v34, v7, -v2
	v_fma_f32 v14, v30, v15, -v37
	;; [unrolled: 1-line block ×4, first 2 shown]
	v_mul_f32_e32 v34, v29, v13
	v_add_f32_e32 v2, v27, v33
	v_fma_f32 v40, v28, v11, -v3
	v_mul_f32_e32 v3, v29, v12
	v_dual_mul_f32 v15, v31, v17 :: v_dual_add_f32 v4, v18, v22
	s_delay_alu instid0(VALU_DEP_4) | instskip(SKIP_1) | instid1(VALU_DEP_4)
	v_fma_f32 v2, -0.5, v2, v18
	v_dual_sub_f32 v5, v23, v14 :: v_dual_fmac_f32 v34, v28, v12
	v_fma_f32 v28, v28, v13, -v3
	s_delay_alu instid0(VALU_DEP_4) | instskip(SKIP_1) | instid1(VALU_DEP_4)
	v_fmac_f32_e32 v15, v30, v16
	v_dual_add_f32 v3, v4, v27 :: v_dual_mul_f32 v10, v31, v16
	v_dual_fmamk_f32 v4, v5, 0xbf737871, v2 :: v_dual_sub_f32 v7, v39, v40
	v_sub_f32_e32 v6, v22, v27
	v_dual_sub_f32 v8, v36, v33 :: v_dual_add_f32 v9, v22, v36
	s_delay_alu instid0(VALU_DEP_3) | instskip(NEXT) | instid1(VALU_DEP_2)
	v_dual_add_f32 v3, v3, v33 :: v_dual_fmac_f32 v4, 0xbf167918, v7
	v_dual_fmac_f32 v2, 0x3f737871, v5 :: v_dual_add_f32 v11, v6, v8
	s_delay_alu instid0(VALU_DEP_3) | instskip(SKIP_1) | instid1(VALU_DEP_3)
	v_fma_f32 v6, -0.5, v9, v18
	v_fma_f32 v17, v30, v17, -v10
	v_dual_sub_f32 v9, v33, v36 :: v_dual_fmac_f32 v2, 0x3f167918, v7
	s_delay_alu instid0(VALU_DEP_4) | instskip(NEXT) | instid1(VALU_DEP_4)
	v_dual_add_f32 v13, v39, v40 :: v_dual_fmac_f32 v4, 0x3e9e377a, v11
	v_fmamk_f32 v10, v7, 0x3f737871, v6
	v_add_f32_e32 v12, v19, v23
	v_add_f32_e32 v8, v3, v36
	v_dual_sub_f32 v3, v27, v22 :: v_dual_fmac_f32 v6, 0xbf737871, v7
	v_fmac_f32_e32 v2, 0x3e9e377a, v11
	v_dual_sub_f32 v16, v23, v39 :: v_dual_sub_f32 v29, v17, v28
	s_delay_alu instid0(VALU_DEP_3)
	v_add_f32_e32 v9, v3, v9
	v_fma_f32 v3, -0.5, v13, v19
	v_sub_f32_e32 v13, v22, v36
	v_dual_add_f32 v7, v12, v39 :: v_dual_fmac_f32 v10, 0xbf167918, v5
	v_sub_f32_e32 v12, v27, v33
	v_fmac_f32_e32 v6, 0x3f167918, v5
	s_delay_alu instid0(VALU_DEP_4) | instskip(NEXT) | instid1(VALU_DEP_4)
	v_fmamk_f32 v5, v13, 0x3f737871, v3
	v_add_f32_e32 v11, v7, v40
	v_dual_add_f32 v7, v23, v14 :: v_dual_sub_f32 v18, v14, v40
	v_fmac_f32_e32 v3, 0xbf737871, v13
	s_delay_alu instid0(VALU_DEP_4) | instskip(SKIP_1) | instid1(VALU_DEP_4)
	v_fmac_f32_e32 v5, 0x3f167918, v12
	v_fmac_f32_e32 v10, 0x3e9e377a, v9
	v_fma_f32 v7, -0.5, v7, v19
	v_add_f32_e32 v16, v16, v18
	v_dual_fmac_f32 v6, 0x3e9e377a, v9 :: v_dual_add_f32 v19, v38, v34
	v_add_f32_e32 v9, v11, v14
	s_delay_alu instid0(VALU_DEP_3) | instskip(SKIP_4) | instid1(VALU_DEP_3)
	v_dual_sub_f32 v18, v39, v23 :: v_dual_fmac_f32 v5, 0x3e9e377a, v16
	v_fmamk_f32 v11, v12, 0xbf737871, v7
	v_dual_sub_f32 v14, v40, v14 :: v_dual_fmac_f32 v3, 0xbf167918, v12
	v_fmac_f32_e32 v7, 0x3f737871, v12
	v_fma_f32 v12, -0.5, v19, v20
	v_dual_fmac_f32 v11, 0x3f167918, v13 :: v_dual_add_f32 v18, v18, v14
	s_delay_alu instid0(VALU_DEP_4) | instskip(SKIP_2) | instid1(VALU_DEP_2)
	v_dual_add_f32 v14, v20, v25 :: v_dual_fmac_f32 v3, 0x3e9e377a, v16
	v_dual_sub_f32 v19, v26, v17 :: v_dual_sub_f32 v22, v32, v28
	v_dual_fmac_f32 v7, 0xbf167918, v13 :: v_dual_sub_f32 v16, v25, v38
	v_dual_add_f32 v13, v14, v38 :: v_dual_fmamk_f32 v14, v19, 0xbf737871, v12
	v_dual_sub_f32 v23, v15, v34 :: v_dual_fmac_f32 v12, 0x3f737871, v19
	s_delay_alu instid0(VALU_DEP_2) | instskip(NEXT) | instid1(VALU_DEP_2)
	v_dual_add_f32 v27, v25, v15 :: v_dual_fmac_f32 v14, 0xbf167918, v22
	v_dual_add_f32 v23, v16, v23 :: v_dual_fmac_f32 v12, 0x3f167918, v22
	s_delay_alu instid0(VALU_DEP_2) | instskip(SKIP_1) | instid1(VALU_DEP_3)
	v_fma_f32 v20, -0.5, v27, v20
	v_add_f32_e32 v13, v13, v34
	v_dual_fmac_f32 v7, 0x3e9e377a, v18 :: v_dual_fmac_f32 v14, 0x3e9e377a, v23
	s_delay_alu instid0(VALU_DEP_4) | instskip(NEXT) | instid1(VALU_DEP_3)
	v_dual_fmac_f32 v12, 0x3e9e377a, v23 :: v_dual_fmac_f32 v11, 0x3e9e377a, v18
	v_add_f32_e32 v16, v13, v15
	v_dual_fmamk_f32 v18, v22, 0x3f737871, v20 :: v_dual_add_f32 v13, v32, v28
	v_dual_sub_f32 v23, v38, v25 :: v_dual_fmac_f32 v20, 0xbf737871, v22
	v_dual_sub_f32 v27, v34, v15 :: v_dual_add_f32 v22, v21, v26
	v_sub_f32_e32 v25, v25, v15
	s_delay_alu instid0(VALU_DEP_4) | instskip(NEXT) | instid1(VALU_DEP_4)
	v_fmac_f32_e32 v18, 0xbf167918, v19
	v_fmac_f32_e32 v20, 0x3f167918, v19
	v_fma_f32 v13, -0.5, v13, v21
	v_add_f32_e32 v19, v22, v32
	v_dual_add_f32 v22, v26, v17 :: v_dual_add_f32 v23, v23, v27
	v_sub_f32_e32 v27, v38, v34
	s_delay_alu instid0(VALU_DEP_4) | instskip(NEXT) | instid1(VALU_DEP_3)
	v_fmamk_f32 v15, v25, 0x3f737871, v13
	v_dual_fmac_f32 v21, -0.5, v22 :: v_dual_sub_f32 v22, v26, v32
	s_delay_alu instid0(VALU_DEP_4) | instskip(SKIP_2) | instid1(VALU_DEP_4)
	v_fmac_f32_e32 v18, 0x3e9e377a, v23
	v_dual_fmac_f32 v20, 0x3e9e377a, v23 :: v_dual_add_f32 v23, v19, v28
	v_sub_f32_e32 v26, v32, v26
	v_dual_sub_f32 v28, v28, v17 :: v_dual_fmamk_f32 v19, v27, 0xbf737871, v21
	v_fmac_f32_e32 v13, 0xbf737871, v25
	v_fmac_f32_e32 v21, 0x3f737871, v27
	v_dual_fmac_f32 v15, 0x3f167918, v27 :: v_dual_add_f32 v22, v22, v29
	s_delay_alu instid0(VALU_DEP_4) | instskip(NEXT) | instid1(VALU_DEP_4)
	v_dual_fmac_f32 v19, 0x3f167918, v25 :: v_dual_add_f32 v26, v26, v28
	v_fmac_f32_e32 v13, 0xbf167918, v27
	s_delay_alu instid0(VALU_DEP_4)
	v_fmac_f32_e32 v21, 0xbf167918, v25
	v_add_f32_e32 v17, v23, v17
	v_fmac_f32_e32 v15, 0x3e9e377a, v22
	v_fmac_f32_e32 v19, 0x3e9e377a, v26
	;; [unrolled: 1-line block ×4, first 2 shown]
	ds_store_2addr_b64 v94, v[8:9], v[4:5] offset1:78
	ds_store_2addr_b64 v94, v[10:11], v[6:7] offset0:156 offset1:234
	ds_store_2addr_b64 v24, v[2:3], v[16:17] offset0:56 offset1:134
	;; [unrolled: 1-line block ×4, first 2 shown]
	global_wb scope:SCOPE_SE
	s_wait_dscnt 0x0
	s_barrier_signal -1
	s_barrier_wait -1
	global_inv scope:SCOPE_SE
	ds_load_2addr_b64 v[2:5], v24 offset0:56 offset1:134
	ds_load_2addr_b64 v[6:9], v1 offset0:84 offset1:162
	;; [unrolled: 1-line block ×3, first 2 shown]
	ds_load_2addr_b64 v[14:17], v94 offset1:78
	ds_load_2addr_b64 v[18:21], v94 offset0:156 offset1:234
	s_wait_dscnt 0x4
	v_mul_f32_e32 v23, v82, v4
	s_wait_dscnt 0x3
	v_mul_f32_e32 v26, v86, v6
	v_mul_f32_e32 v25, v86, v7
	;; [unrolled: 1-line block ×3, first 2 shown]
	v_fma_f32 v5, v81, v5, -v23
	s_delay_alu instid0(VALU_DEP_4)
	v_fma_f32 v7, v85, v7, -v26
	s_wait_dscnt 0x2
	v_mul_f32_e32 v26, v84, v13
	v_fmac_f32_e32 v22, v81, v4
	v_dual_fmac_f32 v25, v85, v6 :: v_dual_mul_f32 v4, v78, v8
	v_mul_f32_e32 v6, v80, v10
	s_delay_alu instid0(VALU_DEP_4)
	v_dual_fmac_f32 v26, v83, v12 :: v_dual_mul_f32 v23, v80, v11
	s_wait_dscnt 0x1
	v_sub_f32_e32 v7, v17, v7
	v_fma_f32 v28, v77, v9, -v4
	v_fma_f32 v29, v79, v11, -v6
	v_dual_sub_f32 v6, v16, v25 :: v_dual_fmac_f32 v23, v79, v10
	v_mul_f32_e32 v27, v78, v9
	v_dual_sub_f32 v4, v14, v22 :: v_dual_sub_f32 v5, v15, v5
	s_wait_dscnt 0x0
	v_dual_sub_f32 v11, v19, v28 :: v_dual_sub_f32 v22, v2, v26
	s_delay_alu instid0(VALU_DEP_3)
	v_fmac_f32_e32 v27, v77, v8
	v_mul_f32_e32 v8, v84, v12
	v_fma_f32 v12, v16, 2.0, -v6
	v_sub_f32_e32 v16, v20, v23
	v_fma_f32 v9, v15, 2.0, -v5
	v_sub_f32_e32 v10, v18, v27
	v_fma_f32 v30, v83, v13, -v8
	v_fma_f32 v13, v17, 2.0, -v7
	v_sub_f32_e32 v17, v21, v29
	v_fma_f32 v8, v14, 2.0, -v4
	v_fma_f32 v14, v18, 2.0, -v10
	v_sub_f32_e32 v23, v3, v30
	v_fma_f32 v15, v19, 2.0, -v11
	v_fma_f32 v18, v20, 2.0, -v16
	v_fma_f32 v19, v21, 2.0, -v17
	v_fma_f32 v2, v2, 2.0, -v22
	v_fma_f32 v3, v3, 2.0, -v23
	ds_store_2addr_b64 v94, v[8:9], v[12:13] offset1:78
	ds_store_2addr_b64 v94, v[14:15], v[18:19] offset0:156 offset1:234
	ds_store_2addr_b64 v24, v[2:3], v[4:5] offset0:56 offset1:134
	ds_store_b64 v94, v[6:7] offset:3744
	ds_store_b64 v90, v[10:11] offset:3120
	;; [unrolled: 1-line block ×4, first 2 shown]
	global_wb scope:SCOPE_SE
	s_wait_dscnt 0x0
	s_barrier_signal -1
	s_barrier_wait -1
	global_inv scope:SCOPE_SE
	ds_load_2addr_b64 v[2:5], v94 offset1:78
	v_mad_co_u64_u32 v[20:21], null, s6, v56, 0
	s_wait_dscnt 0x0
	v_mul_f32_e32 v6, v76, v3
	v_mul_f32_e32 v28, v68, v5
	s_delay_alu instid0(VALU_DEP_2) | instskip(SKIP_1) | instid1(VALU_DEP_3)
	v_fmac_f32_e32 v6, v75, v2
	v_mul_f32_e32 v2, v76, v2
	v_fmac_f32_e32 v28, v67, v4
	v_mul_f32_e32 v4, v68, v4
	s_delay_alu instid0(VALU_DEP_4)
	v_cvt_f64_f32_e32 v[18:19], v6
	ds_load_2addr_b64 v[6:9], v24 offset0:56 offset1:134
	ds_load_2addr_b64 v[10:13], v1 offset0:84 offset1:162
	;; [unrolled: 1-line block ×3, first 2 shown]
	v_fma_f32 v1, v75, v3, -v2
	v_fma_f32 v4, v67, v5, -v4
	v_cvt_f64_f32_e32 v[28:29], v28
	s_delay_alu instid0(VALU_DEP_3) | instskip(NEXT) | instid1(VALU_DEP_3)
	v_cvt_f64_f32_e32 v[22:23], v1
	v_cvt_f64_f32_e32 v[4:5], v4
	s_wait_dscnt 0x2
	v_mul_f32_e32 v2, v72, v9
	s_wait_dscnt 0x1
	v_dual_mul_f32 v3, v72, v8 :: v_dual_mul_f32 v30, v58, v11
	s_wait_dscnt 0x0
	v_dual_mul_f32 v35, v62, v12 :: v_dual_mul_f32 v32, v64, v15
	v_fmac_f32_e32 v2, v71, v8
	s_delay_alu instid0(VALU_DEP_3) | instskip(SKIP_2) | instid1(VALU_DEP_4)
	v_fma_f32 v1, v71, v9, -v3
	v_fmac_f32_e32 v30, v57, v10
	v_mad_co_u64_u32 v[8:9], null, s4, v93, 0
	v_cvt_f64_f32_e32 v[24:25], v2
	s_delay_alu instid0(VALU_DEP_4)
	v_cvt_f64_f32_e32 v[26:27], v1
	ds_load_2addr_b64 v[0:3], v0 offset0:112 offset1:190
	v_mul_f32_e32 v31, v58, v10
	v_dual_mul_f32 v33, v64, v14 :: v_dual_mul_f32 v34, v62, v13
	v_dual_fmac_f32 v32, v63, v14 :: v_dual_mul_f32 v37, v66, v16
	v_mul_f32_e32 v40, v70, v7
	s_delay_alu instid0(VALU_DEP_3) | instskip(NEXT) | instid1(VALU_DEP_4)
	v_fma_f32 v33, v63, v15, -v33
	v_dual_fmac_f32 v34, v61, v12 :: v_dual_mul_f32 v41, v70, v6
	v_fma_f32 v35, v61, v13, -v35
	v_fma_f32 v37, v65, v17, -v37
	v_fmac_f32_e32 v40, v69, v6
	s_wait_alu 0xfffe
	v_mul_f64_e32 v[22:23], s[0:1], v[22:23]
	v_fma_f32 v6, v69, v7, -v41
	v_cvt_f64_f32_e32 v[12:13], v34
	v_mul_f64_e32 v[18:19], s[0:1], v[18:19]
	v_mul_f64_e32 v[28:29], s[0:1], v[28:29]
	;; [unrolled: 1-line block ×3, first 2 shown]
	v_cvt_f64_f32_e32 v[6:7], v6
	s_wait_dscnt 0x0
	v_mul_f32_e32 v38, v60, v1
	v_fma_f32 v31, v57, v11, -v31
	v_cvt_f64_f32_e32 v[10:11], v30
	v_mul_f32_e32 v42, v74, v3
	v_mul_f32_e32 v43, v74, v2
	s_delay_alu instid0(VALU_DEP_4) | instskip(SKIP_1) | instid1(VALU_DEP_4)
	v_cvt_f64_f32_e32 v[14:15], v31
	v_cvt_f64_f32_e32 v[30:31], v32
	v_fmac_f32_e32 v42, v73, v2
	s_delay_alu instid0(VALU_DEP_4) | instskip(SKIP_2) | instid1(VALU_DEP_4)
	v_fma_f32 v43, v73, v3, -v43
	v_cvt_f64_f32_e32 v[32:33], v33
	v_cvt_f64_f32_e32 v[2:3], v40
	;; [unrolled: 1-line block ×3, first 2 shown]
	s_delay_alu instid0(VALU_DEP_4)
	v_cvt_f64_f32_e32 v[42:43], v43
	v_mul_f64_e32 v[24:25], s[0:1], v[24:25]
	v_mul_f64_e32 v[26:27], s[0:1], v[26:27]
	v_mad_co_u64_u32 v[44:45], null, s7, v56, v[21:22]
	v_mul_f32_e32 v36, v66, v17
	v_mul_f64_e32 v[12:13], s[0:1], v[12:13]
	v_cvt_f32_f64_e32 v18, v[18:19]
	v_mul_f64_e32 v[6:7], s[0:1], v[6:7]
	v_mov_b32_e32 v21, v44
	v_mad_co_u64_u32 v[45:46], null, s5, v93, v[9:10]
	v_fmac_f32_e32 v38, v59, v0
	v_mul_f32_e32 v0, v60, v0
	v_fmac_f32_e32 v36, v65, v16
	v_cvt_f64_f32_e32 v[16:17], v35
	v_mul_f64_e32 v[10:11], s[0:1], v[10:11]
	v_mul_f64_e32 v[14:15], s[0:1], v[14:15]
	v_fma_f32 v0, v59, v1, -v0
	v_cvt_f64_f32_e32 v[34:35], v36
	v_cvt_f64_f32_e32 v[36:37], v37
	v_mov_b32_e32 v9, v45
	v_cvt_f64_f32_e32 v[38:39], v38
	v_cvt_f64_f32_e32 v[0:1], v0
	v_mul_f64_e32 v[30:31], s[0:1], v[30:31]
	v_mul_f64_e32 v[32:33], s[0:1], v[32:33]
	;; [unrolled: 1-line block ×5, first 2 shown]
	v_lshlrev_b64_e32 v[19:20], 3, v[20:21]
	v_lshlrev_b64_e32 v[8:9], 3, v[8:9]
	s_delay_alu instid0(VALU_DEP_2) | instskip(SKIP_2) | instid1(VALU_DEP_4)
	v_add_co_u32 v21, vcc_lo, s2, v19
	v_cvt_f32_f64_e32 v19, v[22:23]
	s_wait_alu 0xfffd
	v_add_co_ci_u32_e32 v20, vcc_lo, s3, v20, vcc_lo
	s_delay_alu instid0(VALU_DEP_3) | instskip(SKIP_2) | instid1(VALU_DEP_3)
	v_add_co_u32 v8, vcc_lo, v21, v8
	v_cvt_f32_f64_e32 v21, v[26:27]
	s_wait_alu 0xfffd
	v_add_co_ci_u32_e32 v9, vcc_lo, v20, v9, vcc_lo
	v_cvt_f32_f64_e32 v20, v[24:25]
	v_cvt_f32_f64_e32 v24, v[28:29]
	;; [unrolled: 1-line block ×3, first 2 shown]
	s_movk_i32 s2, 0xf640
	s_mov_b32 s3, -1
	v_cvt_f32_f64_e32 v12, v[12:13]
	s_wait_alu 0xfffe
	s_mul_u64 s[2:3], s[4:5], s[2:3]
	v_mul_f64_e32 v[16:17], s[0:1], v[16:17]
	v_cvt_f32_f64_e32 v4, v[10:11]
	v_cvt_f32_f64_e32 v5, v[14:15]
	v_mul_f64_e32 v[34:35], s[0:1], v[34:35]
	v_mul_f64_e32 v[36:37], s[0:1], v[36:37]
	;; [unrolled: 1-line block ×4, first 2 shown]
	s_mul_u64 s[0:1], s[4:5], 0xc30
	v_cvt_f32_f64_e32 v14, v[30:31]
	s_wait_alu 0xfffe
	v_add_co_u32 v22, vcc_lo, v8, s0
	s_wait_alu 0xfffd
	v_add_co_ci_u32_e32 v23, vcc_lo, s1, v9, vcc_lo
	v_cvt_f32_f64_e32 v15, v[32:33]
	s_delay_alu instid0(VALU_DEP_3) | instskip(SKIP_1) | instid1(VALU_DEP_3)
	v_add_co_u32 v10, vcc_lo, v22, s2
	s_wait_alu 0xfffd
	v_add_co_ci_u32_e32 v11, vcc_lo, s3, v23, vcc_lo
	s_clause 0x2
	global_store_b64 v[8:9], v[18:19], off
	global_store_b64 v[22:23], v[20:21], off
	;; [unrolled: 1-line block ×3, first 2 shown]
	v_cvt_f32_f64_e32 v13, v[16:17]
	v_cvt_f32_f64_e32 v16, v[34:35]
	;; [unrolled: 1-line block ×9, first 2 shown]
	v_add_co_u32 v6, vcc_lo, v10, s0
	s_wait_alu 0xfffd
	v_add_co_ci_u32_e32 v7, vcc_lo, s1, v11, vcc_lo
	s_delay_alu instid0(VALU_DEP_2) | instskip(SKIP_1) | instid1(VALU_DEP_2)
	v_add_co_u32 v28, vcc_lo, v6, s2
	s_wait_alu 0xfffd
	v_add_co_ci_u32_e32 v29, vcc_lo, s3, v7, vcc_lo
	global_store_b64 v[6:7], v[4:5], off
	v_add_co_u32 v8, vcc_lo, v28, s0
	s_wait_alu 0xfffd
	v_add_co_ci_u32_e32 v9, vcc_lo, s1, v29, vcc_lo
	global_store_b64 v[28:29], v[14:15], off
	v_add_co_u32 v18, vcc_lo, v8, s2
	s_wait_alu 0xfffd
	v_add_co_ci_u32_e32 v19, vcc_lo, s3, v9, vcc_lo
	s_delay_alu instid0(VALU_DEP_2) | instskip(SKIP_1) | instid1(VALU_DEP_2)
	v_add_co_u32 v10, vcc_lo, v18, s0
	s_wait_alu 0xfffd
	v_add_co_ci_u32_e32 v11, vcc_lo, s1, v19, vcc_lo
	s_delay_alu instid0(VALU_DEP_2) | instskip(SKIP_1) | instid1(VALU_DEP_2)
	;; [unrolled: 4-line block ×3, first 2 shown]
	v_add_co_u32 v6, vcc_lo, v4, s0
	s_wait_alu 0xfffd
	v_add_co_ci_u32_e32 v7, vcc_lo, s1, v5, vcc_lo
	global_store_b64 v[8:9], v[12:13], off
	global_store_b64 v[18:19], v[16:17], off
	;; [unrolled: 1-line block ×5, first 2 shown]
.LBB0_18:
	s_nop 0
	s_sendmsg sendmsg(MSG_DEALLOC_VGPRS)
	s_endpgm
	.section	.rodata,"a",@progbits
	.p2align	6, 0x0
	.amdhsa_kernel bluestein_single_fwd_len780_dim1_sp_op_CI_CI
		.amdhsa_group_segment_fixed_size 18720
		.amdhsa_private_segment_fixed_size 0
		.amdhsa_kernarg_size 104
		.amdhsa_user_sgpr_count 2
		.amdhsa_user_sgpr_dispatch_ptr 0
		.amdhsa_user_sgpr_queue_ptr 0
		.amdhsa_user_sgpr_kernarg_segment_ptr 1
		.amdhsa_user_sgpr_dispatch_id 0
		.amdhsa_user_sgpr_private_segment_size 0
		.amdhsa_wavefront_size32 1
		.amdhsa_uses_dynamic_stack 0
		.amdhsa_enable_private_segment 0
		.amdhsa_system_sgpr_workgroup_id_x 1
		.amdhsa_system_sgpr_workgroup_id_y 0
		.amdhsa_system_sgpr_workgroup_id_z 0
		.amdhsa_system_sgpr_workgroup_info 0
		.amdhsa_system_vgpr_workitem_id 0
		.amdhsa_next_free_vgpr 225
		.amdhsa_next_free_sgpr 20
		.amdhsa_reserve_vcc 1
		.amdhsa_float_round_mode_32 0
		.amdhsa_float_round_mode_16_64 0
		.amdhsa_float_denorm_mode_32 3
		.amdhsa_float_denorm_mode_16_64 3
		.amdhsa_fp16_overflow 0
		.amdhsa_workgroup_processor_mode 1
		.amdhsa_memory_ordered 1
		.amdhsa_forward_progress 0
		.amdhsa_round_robin_scheduling 0
		.amdhsa_exception_fp_ieee_invalid_op 0
		.amdhsa_exception_fp_denorm_src 0
		.amdhsa_exception_fp_ieee_div_zero 0
		.amdhsa_exception_fp_ieee_overflow 0
		.amdhsa_exception_fp_ieee_underflow 0
		.amdhsa_exception_fp_ieee_inexact 0
		.amdhsa_exception_int_div_zero 0
	.end_amdhsa_kernel
	.text
.Lfunc_end0:
	.size	bluestein_single_fwd_len780_dim1_sp_op_CI_CI, .Lfunc_end0-bluestein_single_fwd_len780_dim1_sp_op_CI_CI
                                        ; -- End function
	.section	.AMDGPU.csdata,"",@progbits
; Kernel info:
; codeLenInByte = 14832
; NumSgprs: 22
; NumVgprs: 225
; ScratchSize: 0
; MemoryBound: 0
; FloatMode: 240
; IeeeMode: 1
; LDSByteSize: 18720 bytes/workgroup (compile time only)
; SGPRBlocks: 2
; VGPRBlocks: 28
; NumSGPRsForWavesPerEU: 22
; NumVGPRsForWavesPerEU: 225
; Occupancy: 6
; WaveLimiterHint : 1
; COMPUTE_PGM_RSRC2:SCRATCH_EN: 0
; COMPUTE_PGM_RSRC2:USER_SGPR: 2
; COMPUTE_PGM_RSRC2:TRAP_HANDLER: 0
; COMPUTE_PGM_RSRC2:TGID_X_EN: 1
; COMPUTE_PGM_RSRC2:TGID_Y_EN: 0
; COMPUTE_PGM_RSRC2:TGID_Z_EN: 0
; COMPUTE_PGM_RSRC2:TIDIG_COMP_CNT: 0
	.text
	.p2alignl 7, 3214868480
	.fill 96, 4, 3214868480
	.type	__hip_cuid_e5a0aef1d901b033,@object ; @__hip_cuid_e5a0aef1d901b033
	.section	.bss,"aw",@nobits
	.globl	__hip_cuid_e5a0aef1d901b033
__hip_cuid_e5a0aef1d901b033:
	.byte	0                               ; 0x0
	.size	__hip_cuid_e5a0aef1d901b033, 1

	.ident	"AMD clang version 19.0.0git (https://github.com/RadeonOpenCompute/llvm-project roc-6.4.0 25133 c7fe45cf4b819c5991fe208aaa96edf142730f1d)"
	.section	".note.GNU-stack","",@progbits
	.addrsig
	.addrsig_sym __hip_cuid_e5a0aef1d901b033
	.amdgpu_metadata
---
amdhsa.kernels:
  - .args:
      - .actual_access:  read_only
        .address_space:  global
        .offset:         0
        .size:           8
        .value_kind:     global_buffer
      - .actual_access:  read_only
        .address_space:  global
        .offset:         8
        .size:           8
        .value_kind:     global_buffer
      - .actual_access:  read_only
        .address_space:  global
        .offset:         16
        .size:           8
        .value_kind:     global_buffer
      - .actual_access:  read_only
        .address_space:  global
        .offset:         24
        .size:           8
        .value_kind:     global_buffer
      - .actual_access:  read_only
        .address_space:  global
        .offset:         32
        .size:           8
        .value_kind:     global_buffer
      - .offset:         40
        .size:           8
        .value_kind:     by_value
      - .address_space:  global
        .offset:         48
        .size:           8
        .value_kind:     global_buffer
      - .address_space:  global
        .offset:         56
        .size:           8
        .value_kind:     global_buffer
      - .address_space:  global
        .offset:         64
        .size:           8
        .value_kind:     global_buffer
      - .address_space:  global
        .offset:         72
        .size:           8
        .value_kind:     global_buffer
      - .offset:         80
        .size:           4
        .value_kind:     by_value
      - .address_space:  global
        .offset:         88
        .size:           8
        .value_kind:     global_buffer
      - .address_space:  global
        .offset:         96
        .size:           8
        .value_kind:     global_buffer
    .group_segment_fixed_size: 18720
    .kernarg_segment_align: 8
    .kernarg_segment_size: 104
    .language:       OpenCL C
    .language_version:
      - 2
      - 0
    .max_flat_workgroup_size: 234
    .name:           bluestein_single_fwd_len780_dim1_sp_op_CI_CI
    .private_segment_fixed_size: 0
    .sgpr_count:     22
    .sgpr_spill_count: 0
    .symbol:         bluestein_single_fwd_len780_dim1_sp_op_CI_CI.kd
    .uniform_work_group_size: 1
    .uses_dynamic_stack: false
    .vgpr_count:     225
    .vgpr_spill_count: 0
    .wavefront_size: 32
    .workgroup_processor_mode: 1
amdhsa.target:   amdgcn-amd-amdhsa--gfx1201
amdhsa.version:
  - 1
  - 2
...

	.end_amdgpu_metadata
